;; amdgpu-corpus repo=ROCm/rocFFT kind=compiled arch=gfx906 opt=O3
	.text
	.amdgcn_target "amdgcn-amd-amdhsa--gfx906"
	.amdhsa_code_object_version 6
	.protected	bluestein_single_fwd_len847_dim1_sp_op_CI_CI ; -- Begin function bluestein_single_fwd_len847_dim1_sp_op_CI_CI
	.globl	bluestein_single_fwd_len847_dim1_sp_op_CI_CI
	.p2align	8
	.type	bluestein_single_fwd_len847_dim1_sp_op_CI_CI,@function
bluestein_single_fwd_len847_dim1_sp_op_CI_CI: ; @bluestein_single_fwd_len847_dim1_sp_op_CI_CI
; %bb.0:
	v_mul_u32_u24_e32 v1, 0x354, v0
	s_load_dwordx4 s[8:11], s[4:5], 0x28
	v_lshrrev_b32_e32 v1, 16, v1
	v_mad_u64_u32 v[72:73], s[0:1], s6, 3, v[1:2]
	v_mov_b32_e32 v73, 0
	s_waitcnt lgkmcnt(0)
	v_cmp_gt_u64_e32 vcc, s[8:9], v[72:73]
	s_and_saveexec_b64 s[0:1], vcc
	s_cbranch_execz .LBB0_10
; %bb.1:
	s_load_dwordx4 s[0:3], s[4:5], 0x18
	s_load_dwordx4 s[12:15], s[4:5], 0x0
	v_mul_lo_u16_e32 v1, 0x4d, v1
	v_sub_u16_e32 v96, v0, v1
	v_lshlrev_b32_e32 v26, 3, v96
	s_waitcnt lgkmcnt(0)
	s_load_dwordx4 s[16:19], s[0:1], 0x0
	s_movk_i32 s8, 0x1000
                                        ; implicit-def: $vgpr50
	s_waitcnt lgkmcnt(0)
	v_mad_u64_u32 v[0:1], s[0:1], s18, v72, 0
	v_mad_u64_u32 v[2:3], s[0:1], s16, v96, 0
	s_mul_i32 s6, s17, 0x268
	s_mul_hi_u32 s7, s16, 0x268
	v_mad_u64_u32 v[4:5], s[0:1], s19, v72, v[1:2]
	s_add_i32 s6, s7, s6
	s_mul_i32 s7, s16, 0x268
	v_mad_u64_u32 v[5:6], s[0:1], s17, v96, v[3:4]
	v_mov_b32_e32 v1, v4
	v_lshlrev_b64 v[0:1], 3, v[0:1]
	v_mov_b32_e32 v6, s11
	v_mov_b32_e32 v3, v5
	v_add_co_u32_e32 v4, vcc, s10, v0
	v_addc_co_u32_e32 v5, vcc, v6, v1, vcc
	v_lshlrev_b64 v[0:1], 3, v[2:3]
	v_add_co_u32_e64 v52, s[0:1], s12, v26
	v_add_co_u32_e32 v0, vcc, v4, v0
	v_mov_b32_e32 v4, s13
	v_addc_co_u32_e32 v1, vcc, v5, v1, vcc
	v_addc_co_u32_e64 v19, vcc, 0, v4, s[0:1]
	global_load_dwordx2 v[2:3], v[0:1], off
	v_mov_b32_e32 v4, s6
	v_add_co_u32_e32 v0, vcc, s7, v0
	v_addc_co_u32_e32 v1, vcc, v1, v4, vcc
	v_mov_b32_e32 v5, s6
	v_add_co_u32_e32 v4, vcc, s7, v0
	v_addc_co_u32_e32 v5, vcc, v1, v5, vcc
	;; [unrolled: 3-line block ×4, first 2 shown]
	global_load_dwordx2 v[85:86], v26, s[12:13]
	global_load_dwordx2 v[83:84], v26, s[12:13] offset:616
	global_load_dwordx2 v[79:80], v26, s[12:13] offset:1232
	;; [unrolled: 1-line block ×3, first 2 shown]
	global_load_dwordx2 v[10:11], v[0:1], off
	global_load_dwordx2 v[12:13], v[4:5], off
	;; [unrolled: 1-line block ×4, first 2 shown]
	v_mov_b32_e32 v1, s6
	v_add_co_u32_e32 v0, vcc, s7, v8
	v_addc_co_u32_e32 v1, vcc, v9, v1, vcc
	global_load_dwordx2 v[4:5], v[0:1], off
	v_mov_b32_e32 v6, s6
	v_add_co_u32_e32 v0, vcc, s7, v0
	v_addc_co_u32_e32 v1, vcc, v1, v6, vcc
	global_load_dwordx2 v[6:7], v[0:1], off
	global_load_dwordx2 v[81:82], v26, s[12:13] offset:2464
	global_load_dwordx2 v[77:78], v26, s[12:13] offset:3080
	;; [unrolled: 1-line block ×3, first 2 shown]
	v_mov_b32_e32 v8, s6
	v_add_co_u32_e32 v0, vcc, s7, v0
	v_addc_co_u32_e32 v1, vcc, v1, v8, vcc
	v_add_co_u32_e32 v18, vcc, s8, v52
	v_addc_co_u32_e32 v19, vcc, 0, v19, vcc
	global_load_dwordx2 v[8:9], v[0:1], off
	v_mov_b32_e32 v20, s6
	v_add_co_u32_e32 v0, vcc, s7, v0
	v_addc_co_u32_e32 v1, vcc, v1, v20, vcc
	global_load_dwordx2 v[73:74], v[18:19], off offset:216
	global_load_dwordx2 v[20:21], v[0:1], off
	global_load_dwordx2 v[68:69], v[18:19], off offset:832
	v_mov_b32_e32 v22, s6
	v_add_co_u32_e32 v0, vcc, s7, v0
	v_addc_co_u32_e32 v1, vcc, v1, v22, vcc
	global_load_dwordx2 v[22:23], v[0:1], off
	global_load_dwordx2 v[66:67], v[18:19], off offset:1448
	v_mov_b32_e32 v24, s6
	v_add_co_u32_e32 v0, vcc, s7, v0
	v_addc_co_u32_e32 v1, vcc, v1, v24, vcc
	global_load_dwordx2 v[24:25], v[0:1], off
	global_load_dwordx2 v[64:65], v[18:19], off offset:2064
	s_mov_b32 s6, 0xaaaaaaab
	v_mul_hi_u32 v0, v72, s6
	s_load_dwordx2 s[6:7], s[4:5], 0x38
	s_load_dwordx4 s[8:11], s[2:3], 0x0
	s_mov_b32 s4, 0x3f575c64
	s_mov_b32 s2, 0x3ed4b147
	v_lshrrev_b32_e32 v0, 1, v0
	v_lshl_add_u32 v0, v0, 1, v0
	v_sub_u32_e32 v0, v72, v0
	v_mul_u32_u24_e32 v1, 0x34f, v0
	v_lshlrev_b32_e32 v97, 3, v1
	v_add_u32_e32 v95, v26, v97
	v_add_u32_e32 v30, 0xc00, v95
	s_mov_b32 s3, 0xbe11bafb
	s_mov_b32 s5, 0xbf27a4f4
	;; [unrolled: 1-line block ×3, first 2 shown]
	v_cmp_gt_u16_e32 vcc, 44, v96
	s_waitcnt vmcnt(20)
	v_mul_f32_e32 v0, v3, v86
	v_mul_f32_e32 v1, v2, v86
	v_fmac_f32_e32 v0, v2, v85
	v_fma_f32 v1, v3, v85, -v1
	s_waitcnt vmcnt(16)
	v_mul_f32_e32 v2, v11, v84
	v_mul_f32_e32 v3, v10, v84
	v_fmac_f32_e32 v2, v10, v83
	v_fma_f32 v3, v11, v83, -v3
	ds_write2_b64 v95, v[0:1], v[2:3] offset1:77
	s_waitcnt vmcnt(15)
	v_mul_f32_e32 v0, v13, v80
	v_mul_f32_e32 v1, v12, v80
	s_waitcnt vmcnt(14)
	v_mul_f32_e32 v2, v15, v76
	v_mul_f32_e32 v3, v14, v76
	v_fmac_f32_e32 v0, v12, v79
	v_fma_f32 v1, v13, v79, -v1
	v_fmac_f32_e32 v2, v14, v75
	v_fma_f32 v3, v15, v75, -v3
	ds_write2_b64 v95, v[0:1], v[2:3] offset0:154 offset1:231
	s_waitcnt vmcnt(10)
	v_mul_f32_e32 v0, v16, v82
	v_mul_f32_e32 v1, v17, v82
	v_fma_f32 v2, v17, v81, -v0
	s_waitcnt vmcnt(9)
	v_mul_f32_e32 v3, v5, v78
	v_mul_f32_e32 v0, v4, v78
	v_fmac_f32_e32 v1, v16, v81
	v_fmac_f32_e32 v3, v4, v77
	v_fma_f32 v4, v5, v77, -v0
	v_add_u32_e32 v0, 0x800, v95
	ds_write2_b64 v0, v[1:2], v[3:4] offset0:52 offset1:129
	s_waitcnt vmcnt(8)
	v_mul_f32_e32 v1, v7, v71
	v_mul_f32_e32 v2, v6, v71
	s_waitcnt vmcnt(6)
	v_mul_f32_e32 v3, v9, v74
	v_mul_f32_e32 v4, v8, v74
	v_fmac_f32_e32 v1, v6, v70
	v_fma_f32 v2, v7, v70, -v2
	v_fmac_f32_e32 v3, v8, v73
	v_fma_f32 v4, v9, v73, -v4
	ds_write2_b64 v30, v[1:2], v[3:4] offset0:78 offset1:155
	s_waitcnt vmcnt(4)
	v_mul_f32_e32 v1, v20, v69
	v_mul_f32_e32 v2, v21, v69
	v_fma_f32 v3, v21, v68, -v1
	s_waitcnt vmcnt(2)
	v_mul_f32_e32 v4, v23, v67
	v_mul_f32_e32 v1, v22, v67
	v_fmac_f32_e32 v2, v20, v68
	v_fmac_f32_e32 v4, v22, v66
	v_fma_f32 v5, v23, v66, -v1
	v_add_u32_e32 v1, 0x1000, v95
	ds_write2_b64 v1, v[2:3], v[4:5] offset0:104 offset1:181
	s_waitcnt vmcnt(0)
	v_mul_f32_e32 v2, v25, v65
	v_mul_f32_e32 v3, v24, v65
	v_fmac_f32_e32 v2, v24, v64
	v_fma_f32 v3, v25, v64, -v3
	ds_write_b64 v95, v[2:3] offset:6160
	s_waitcnt lgkmcnt(0)
	s_barrier
	ds_read2_b64 v[2:5], v95 offset1:77
	ds_read2_b64 v[6:9], v95 offset0:154 offset1:231
	ds_read2_b64 v[10:13], v0 offset0:52 offset1:129
	;; [unrolled: 1-line block ×4, first 2 shown]
	ds_read_b64 v[22:23], v95 offset:6160
	s_waitcnt lgkmcnt(5)
	v_add_f32_e32 v24, v2, v4
	v_add_f32_e32 v25, v3, v5
	s_waitcnt lgkmcnt(4)
	v_add_f32_e32 v24, v24, v6
	v_add_f32_e32 v25, v25, v7
	v_add_f32_e32 v24, v24, v8
	v_add_f32_e32 v25, v25, v9
	s_waitcnt lgkmcnt(3)
	v_add_f32_e32 v24, v24, v10
	v_add_f32_e32 v25, v25, v11
	;; [unrolled: 5-line block ×5, first 2 shown]
	v_add_f32_e32 v24, v22, v4
	v_add_f32_e32 v25, v23, v5
	v_sub_f32_e32 v4, v4, v22
	v_sub_f32_e32 v5, v5, v23
	v_mul_f32_e32 v22, 0xbf0a6770, v5
	v_mul_f32_e32 v28, 0xbf0a6770, v4
	;; [unrolled: 1-line block ×10, first 2 shown]
	v_fma_f32 v23, v24, s4, -v22
	v_mov_b32_e32 v29, v28
	v_fmac_f32_e32 v22, 0x3f575c64, v24
	v_fma_f32 v32, v24, s2, -v31
	v_mov_b32_e32 v34, v33
	v_fmac_f32_e32 v31, 0x3ed4b147, v24
	;; [unrolled: 3-line block ×5, first 2 shown]
	v_add_f32_e32 v23, v2, v23
	v_fmac_f32_e32 v29, 0x3f575c64, v25
	v_add_f32_e32 v22, v2, v22
	v_fma_f32 v28, v25, s4, -v28
	v_add_f32_e32 v32, v2, v32
	v_fmac_f32_e32 v34, 0x3ed4b147, v25
	v_add_f32_e32 v31, v2, v31
	v_fma_f32 v33, v25, s2, -v33
	;; [unrolled: 4-line block ×5, first 2 shown]
	v_add_f32_e32 v5, v21, v7
	v_sub_f32_e32 v7, v7, v21
	v_add_f32_e32 v29, v3, v29
	v_add_f32_e32 v28, v3, v28
	;; [unrolled: 1-line block ×11, first 2 shown]
	v_sub_f32_e32 v6, v6, v20
	v_mul_f32_e32 v20, 0xbf68dda4, v7
	v_fma_f32 v21, v4, s2, -v20
	v_add_f32_e32 v21, v21, v23
	v_mul_f32_e32 v23, 0xbf68dda4, v6
	v_fmac_f32_e32 v20, 0x3ed4b147, v4
	v_mov_b32_e32 v24, v23
	v_add_f32_e32 v20, v20, v22
	v_fma_f32 v22, v5, s2, -v23
	v_mul_f32_e32 v23, 0xbf4178ce, v7
	v_fma_f32 v25, v4, s5, -v23
	v_fmac_f32_e32 v23, 0xbf27a4f4, v4
	v_fmac_f32_e32 v24, 0x3ed4b147, v5
	v_add_f32_e32 v22, v22, v28
	v_mul_f32_e32 v28, 0xbf4178ce, v6
	v_add_f32_e32 v23, v23, v31
	v_mul_f32_e32 v31, 0x3e903f40, v7
	v_add_f32_e32 v24, v24, v29
	v_add_f32_e32 v25, v25, v32
	v_mov_b32_e32 v29, v28
	v_fma_f32 v28, v5, s5, -v28
	v_fma_f32 v32, v4, s12, -v31
	v_fmac_f32_e32 v31, 0xbf75a155, v4
	v_fmac_f32_e32 v29, 0xbf27a4f4, v5
	v_add_f32_e32 v28, v28, v33
	v_mul_f32_e32 v33, 0x3e903f40, v6
	v_add_f32_e32 v31, v31, v35
	v_mul_f32_e32 v35, 0x3f7d64f0, v7
	v_add_f32_e32 v29, v29, v34
	v_add_f32_e32 v32, v32, v36
	v_mov_b32_e32 v34, v33
	v_fma_f32 v33, v5, s12, -v33
	v_fma_f32 v36, v4, s3, -v35
	v_fmac_f32_e32 v35, 0xbe11bafb, v4
	v_mul_f32_e32 v7, 0x3f0a6770, v7
	v_add_f32_e32 v33, v33, v37
	v_mul_f32_e32 v37, 0x3f7d64f0, v6
	v_add_f32_e32 v35, v35, v39
	v_fma_f32 v39, v4, s4, -v7
	v_mul_f32_e32 v6, 0x3f0a6770, v6
	v_fmac_f32_e32 v7, 0x3f575c64, v4
	v_fmac_f32_e32 v34, 0xbf75a155, v5
	v_add_f32_e32 v2, v7, v2
	v_fma_f32 v4, v5, s4, -v6
	v_sub_f32_e32 v7, v9, v19
	v_add_f32_e32 v34, v34, v38
	v_add_f32_e32 v36, v36, v40
	v_mov_b32_e32 v38, v37
	v_mov_b32_e32 v40, v6
	v_add_f32_e32 v3, v4, v3
	v_add_f32_e32 v4, v18, v8
	v_sub_f32_e32 v6, v8, v18
	v_mul_f32_e32 v8, 0xbf7d64f0, v7
	v_fmac_f32_e32 v38, 0xbe11bafb, v5
	v_fma_f32 v37, v5, s3, -v37
	v_fmac_f32_e32 v40, 0x3f575c64, v5
	v_add_f32_e32 v5, v19, v9
	v_fma_f32 v9, v4, s3, -v8
	v_fmac_f32_e32 v8, 0xbe11bafb, v4
	v_mul_f32_e32 v18, 0xbf7d64f0, v6
	v_add_f32_e32 v8, v8, v20
	v_mul_f32_e32 v20, 0x3e903f40, v7
	v_add_f32_e32 v9, v9, v21
	v_mov_b32_e32 v19, v18
	v_fma_f32 v18, v5, s3, -v18
	v_fma_f32 v21, v4, s12, -v20
	v_fmac_f32_e32 v20, 0xbf75a155, v4
	v_fmac_f32_e32 v19, 0xbe11bafb, v5
	v_add_f32_e32 v18, v18, v22
	v_mul_f32_e32 v22, 0x3e903f40, v6
	v_add_f32_e32 v20, v20, v23
	v_mul_f32_e32 v23, 0x3f68dda4, v7
	v_add_f32_e32 v19, v19, v24
	v_add_f32_e32 v21, v21, v25
	v_mov_b32_e32 v24, v22
	v_fma_f32 v22, v5, s12, -v22
	v_fma_f32 v25, v4, s2, -v23
	v_fmac_f32_e32 v23, 0x3ed4b147, v4
	v_fmac_f32_e32 v24, 0xbf75a155, v5
	v_add_f32_e32 v22, v22, v28
	v_mul_f32_e32 v28, 0x3f68dda4, v6
	v_add_f32_e32 v23, v23, v31
	v_mul_f32_e32 v31, 0xbf0a6770, v7
	v_add_f32_e32 v24, v24, v29
	v_add_f32_e32 v25, v25, v32
	v_mov_b32_e32 v29, v28
	v_fma_f32 v28, v5, s2, -v28
	v_fma_f32 v32, v4, s4, -v31
	v_fmac_f32_e32 v31, 0x3f575c64, v4
	v_mul_f32_e32 v7, 0xbf4178ce, v7
	v_add_f32_e32 v28, v28, v33
	v_mul_f32_e32 v33, 0xbf0a6770, v6
	v_add_f32_e32 v31, v31, v35
	v_fma_f32 v35, v4, s5, -v7
	v_mul_f32_e32 v6, 0xbf4178ce, v6
	v_fmac_f32_e32 v7, 0xbf27a4f4, v4
	v_fmac_f32_e32 v29, 0x3ed4b147, v5
	v_add_f32_e32 v2, v7, v2
	v_fma_f32 v4, v5, s5, -v6
	v_sub_f32_e32 v7, v11, v17
	v_add_f32_e32 v29, v29, v34
	v_add_f32_e32 v32, v32, v36
	v_mov_b32_e32 v34, v33
	v_mov_b32_e32 v36, v6
	v_add_f32_e32 v3, v4, v3
	v_add_f32_e32 v4, v16, v10
	v_sub_f32_e32 v6, v10, v16
	v_mul_f32_e32 v10, 0xbf4178ce, v7
	v_fmac_f32_e32 v34, 0x3f575c64, v5
	v_fma_f32 v33, v5, s4, -v33
	v_fmac_f32_e32 v36, 0xbf27a4f4, v5
	v_add_f32_e32 v5, v17, v11
	v_fma_f32 v11, v4, s5, -v10
	v_add_f32_e32 v9, v11, v9
	v_mul_f32_e32 v11, 0xbf4178ce, v6
	v_fmac_f32_e32 v10, 0xbf27a4f4, v4
	v_mov_b32_e32 v16, v11
	v_add_f32_e32 v8, v10, v8
	v_fma_f32 v10, v5, s5, -v11
	v_fmac_f32_e32 v16, 0xbf27a4f4, v5
	v_add_f32_e32 v10, v10, v18
	v_mul_f32_e32 v11, 0x3f7d64f0, v7
	v_mul_f32_e32 v18, 0x3f7d64f0, v6
	v_add_f32_e32 v16, v16, v19
	v_fma_f32 v17, v4, s3, -v11
	v_mov_b32_e32 v19, v18
	v_fmac_f32_e32 v11, 0xbe11bafb, v4
	v_fma_f32 v18, v5, s3, -v18
	v_fmac_f32_e32 v19, 0xbe11bafb, v5
	v_add_f32_e32 v11, v11, v20
	v_add_f32_e32 v18, v18, v22
	v_mul_f32_e32 v20, 0xbf0a6770, v7
	v_mul_f32_e32 v22, 0xbf0a6770, v6
	v_add_f32_e32 v17, v17, v21
	v_add_f32_e32 v19, v19, v24
	v_fma_f32 v21, v4, s4, -v20
	v_mov_b32_e32 v24, v22
	v_fmac_f32_e32 v20, 0x3f575c64, v4
	v_fmac_f32_e32 v24, 0x3f575c64, v5
	v_add_f32_e32 v20, v20, v23
	v_mul_f32_e32 v23, 0xbe903f40, v7
	v_add_f32_e32 v29, v24, v29
	v_fma_f32 v22, v5, s4, -v22
	v_fma_f32 v24, v4, s12, -v23
	v_add_f32_e32 v37, v37, v41
	v_add_f32_e32 v22, v22, v28
	;; [unrolled: 1-line block ×3, first 2 shown]
	v_mul_f32_e32 v24, 0xbe903f40, v6
	v_add_f32_e32 v39, v39, v43
	v_add_f32_e32 v33, v33, v37
	;; [unrolled: 1-line block ×3, first 2 shown]
	v_mov_b32_e32 v25, v24
	v_fmac_f32_e32 v23, 0xbf75a155, v4
	v_fma_f32 v24, v5, s12, -v24
	v_mul_f32_e32 v7, 0x3f68dda4, v7
	v_add_f32_e32 v38, v38, v42
	v_add_f32_e32 v35, v35, v39
	;; [unrolled: 1-line block ×4, first 2 shown]
	v_fma_f32 v24, v4, s2, -v7
	v_mul_f32_e32 v6, 0x3f68dda4, v6
	v_add_f32_e32 v40, v40, v44
	v_add_f32_e32 v34, v34, v38
	;; [unrolled: 1-line block ×3, first 2 shown]
	v_mov_b32_e32 v24, v6
	v_fmac_f32_e32 v7, 0x3ed4b147, v4
	v_add_f32_e32 v38, v15, v13
	v_sub_f32_e32 v13, v13, v15
	v_add_f32_e32 v36, v36, v40
	v_fmac_f32_e32 v25, 0xbf75a155, v5
	v_fmac_f32_e32 v24, 0x3ed4b147, v5
	v_add_f32_e32 v35, v7, v2
	v_fma_f32 v2, v5, s2, -v6
	v_add_f32_e32 v37, v14, v12
	v_sub_f32_e32 v12, v12, v14
	v_mul_f32_e32 v4, 0xbe903f40, v13
	v_add_f32_e32 v32, v25, v34
	v_add_f32_e32 v34, v24, v36
	v_add_f32_e32 v36, v2, v3
	v_fma_f32 v2, v37, s12, -v4
	v_mul_f32_e32 v5, 0xbe903f40, v12
	v_fmac_f32_e32 v4, 0xbf75a155, v37
	v_add_f32_e32 v24, v4, v8
	v_fma_f32 v4, v38, s12, -v5
	v_mul_f32_e32 v6, 0x3f0a6770, v13
	v_add_f32_e32 v25, v4, v10
	v_fma_f32 v4, v37, s4, -v6
	v_mul_f32_e32 v7, 0x3f0a6770, v12
	v_fmac_f32_e32 v6, 0x3f575c64, v37
	v_add_f32_e32 v44, v6, v11
	v_fma_f32 v6, v38, s4, -v7
	v_mul_f32_e32 v8, 0xbf4178ce, v13
	v_add_f32_e32 v2, v2, v9
	v_add_f32_e32 v45, v6, v18
	v_fma_f32 v6, v37, s5, -v8
	v_mul_f32_e32 v9, 0xbf4178ce, v12
	v_fmac_f32_e32 v8, 0xbf27a4f4, v37
	v_add_f32_e32 v46, v8, v20
	v_fma_f32 v8, v38, s5, -v9
	v_mul_f32_e32 v10, 0x3f68dda4, v13
	v_add_f32_e32 v47, v8, v22
	v_fma_f32 v8, v37, s2, -v10
	v_mul_f32_e32 v11, 0x3f68dda4, v12
	v_fmac_f32_e32 v10, 0x3ed4b147, v37
	v_add_f32_e32 v42, v10, v23
	v_fma_f32 v10, v38, s2, -v11
	v_mul_f32_e32 v13, 0xbf7d64f0, v13
	v_mov_b32_e32 v3, v5
	v_add_f32_e32 v43, v10, v31
	v_fma_f32 v10, v37, s3, -v13
	v_mul_f32_e32 v14, 0xbf7d64f0, v12
	v_fmac_f32_e32 v13, 0xbe11bafb, v37
	v_fmac_f32_e32 v3, 0xbf75a155, v38
	v_mov_b32_e32 v5, v7
	v_mov_b32_e32 v7, v9
	;; [unrolled: 1-line block ×4, first 2 shown]
	v_add_f32_e32 v12, v13, v35
	v_fma_f32 v13, v38, s3, -v14
	v_mul_lo_u16_e32 v14, 11, v96
	v_add_f32_e32 v3, v3, v16
	v_fmac_f32_e32 v5, 0x3f575c64, v38
	v_fmac_f32_e32 v7, 0xbf27a4f4, v38
	;; [unrolled: 1-line block ×4, first 2 shown]
	v_lshl_add_u32 v53, v14, 3, v97
	v_add_f32_e32 v4, v4, v17
	v_add_f32_e32 v5, v5, v19
	;; [unrolled: 1-line block ×9, first 2 shown]
	s_barrier
	ds_write2_b64 v53, v[26:27], v[2:3] offset1:1
	ds_write2_b64 v53, v[4:5], v[6:7] offset0:2 offset1:3
	ds_write2_b64 v53, v[8:9], v[10:11] offset0:4 offset1:5
	;; [unrolled: 1-line block ×4, first 2 shown]
	ds_write_b64 v53, v[24:25] offset:80
	v_add_u32_e32 v2, 0x400, v95
	s_waitcnt lgkmcnt(0)
	s_barrier
	ds_read2_b64 v[26:29], v95 offset1:121
	ds_read2_b64 v[34:37], v2 offset0:114 offset1:235
	ds_read2_b64 v[30:33], v30 offset0:100 offset1:221
	ds_read_b64 v[48:49], v95 offset:5808
                                        ; implicit-def: $vgpr40
	s_and_saveexec_b64 s[2:3], vcc
	s_cbranch_execz .LBB0_3
; %bb.2:
	ds_read2_b64 v[22:25], v0 offset0:63 offset1:184
	ds_read2_b64 v[2:5], v95 offset0:77 offset1:198
	;; [unrolled: 1-line block ×3, first 2 shown]
	ds_read_b64 v[50:51], v95 offset:6424
	s_waitcnt lgkmcnt(3)
	v_mov_b32_e32 v44, v22
	v_mov_b32_e32 v45, v23
	s_waitcnt lgkmcnt(2)
	v_mov_b32_e32 v46, v4
	v_mov_b32_e32 v47, v5
	;; [unrolled: 1-line block ×4, first 2 shown]
.LBB0_3:
	s_or_b64 exec, exec, s[2:3]
	s_movk_i32 s2, 0x75
	v_mul_lo_u16_sdwa v0, v96, s2 dst_sel:DWORD dst_unused:UNUSED_PAD src0_sel:BYTE_0 src1_sel:DWORD
	v_add_u16_e32 v2, 0x4d, v96
	v_sub_u16_sdwa v1, v96, v0 dst_sel:DWORD dst_unused:UNUSED_PAD src0_sel:DWORD src1_sel:BYTE_1
	v_mul_lo_u16_sdwa v3, v2, s2 dst_sel:DWORD dst_unused:UNUSED_PAD src0_sel:BYTE_0 src1_sel:DWORD
	v_lshrrev_b16_e32 v1, 1, v1
	v_sub_u16_sdwa v4, v2, v3 dst_sel:DWORD dst_unused:UNUSED_PAD src0_sel:DWORD src1_sel:BYTE_1
	v_and_b32_e32 v1, 0x7f, v1
	v_lshrrev_b16_e32 v4, 1, v4
	v_add_u16_sdwa v0, v1, v0 dst_sel:DWORD dst_unused:UNUSED_PAD src0_sel:DWORD src1_sel:BYTE_1
	v_and_b32_e32 v4, 0x7f, v4
	v_lshrrev_b16_e32 v60, 3, v0
	v_add_u16_sdwa v3, v4, v3 dst_sel:DWORD dst_unused:UNUSED_PAD src0_sel:DWORD src1_sel:BYTE_1
	v_mul_lo_u16_e32 v0, 11, v60
	v_lshrrev_b16_e32 v98, 3, v3
	v_sub_u16_e32 v61, v96, v0
	v_mov_b32_e32 v0, 6
	v_mul_lo_u16_e32 v3, 11, v98
	v_mul_u32_u24_sdwa v1, v61, v0 dst_sel:DWORD dst_unused:UNUSED_PAD src0_sel:BYTE_0 src1_sel:DWORD
	v_sub_u16_e32 v99, v2, v3
	v_lshlrev_b32_e32 v1, 3, v1
	v_mul_u32_u24_sdwa v0, v99, v0 dst_sel:DWORD dst_unused:UNUSED_PAD src0_sel:BYTE_0 src1_sel:DWORD
	global_load_dwordx4 v[12:15], v1, s[14:15] offset:16
	global_load_dwordx4 v[16:19], v1, s[14:15]
	global_load_dwordx4 v[20:23], v1, s[14:15] offset:32
	v_lshlrev_b32_e32 v54, 3, v0
	global_load_dwordx4 v[0:3], v54, s[14:15]
	global_load_dwordx4 v[8:11], v54, s[14:15] offset:16
	global_load_dwordx4 v[4:7], v54, s[14:15] offset:32
	s_mov_b32 s2, 0x3f5ff5aa
	s_mov_b32 s3, 0x3f3bfb3b
	;; [unrolled: 1-line block ×4, first 2 shown]
	s_waitcnt vmcnt(0) lgkmcnt(0)
	s_barrier
	v_mul_f32_e32 v63, v30, v15
	v_mul_f32_e32 v54, v29, v17
	;; [unrolled: 1-line block ×14, first 2 shown]
	v_fma_f32 v34, v34, v18, -v56
	v_fmac_f32_e32 v63, v31, v14
	v_fma_f32 v31, v32, v20, -v87
	v_fma_f32 v32, v48, v22, -v89
	;; [unrolled: 1-line block ×3, first 2 shown]
	v_mul_f32_e32 v59, v36, v13
	v_mul_f32_e32 v91, v47, v1
	;; [unrolled: 1-line block ×6, first 2 shown]
	v_fmac_f32_e32 v57, v35, v18
	v_fma_f32 v35, v36, v12, -v58
	v_fma_f32 v30, v30, v14, -v62
	v_fmac_f32_e32 v88, v33, v20
	v_fmac_f32_e32 v90, v49, v22
	;; [unrolled: 1-line block ×4, first 2 shown]
	v_fma_f32 v25, v38, v10, -v102
	v_fma_f32 v36, v40, v4, -v104
	v_add_f32_e32 v38, v28, v32
	v_add_f32_e32 v40, v34, v31
	v_mul_f32_e32 v92, v46, v1
	v_mul_f32_e32 v94, v44, v3
	;; [unrolled: 1-line block ×3, first 2 shown]
	v_fmac_f32_e32 v59, v37, v12
	v_fma_f32 v33, v46, v0, -v91
	v_fma_f32 v29, v44, v2, -v93
	v_fmac_f32_e32 v103, v39, v10
	v_fmac_f32_e32 v105, v41, v4
	v_add_f32_e32 v39, v55, v90
	v_add_f32_e32 v41, v57, v88
	v_sub_f32_e32 v31, v34, v31
	v_add_f32_e32 v44, v35, v30
	v_sub_f32_e32 v30, v30, v35
	v_add_f32_e32 v46, v40, v38
	v_mul_f32_e32 v107, v50, v7
	v_fmac_f32_e32 v92, v47, v0
	v_fmac_f32_e32 v94, v45, v2
	v_fma_f32 v37, v50, v6, -v106
	v_sub_f32_e32 v28, v28, v32
	v_sub_f32_e32 v34, v57, v88
	v_add_f32_e32 v45, v59, v63
	v_sub_f32_e32 v35, v63, v59
	v_add_f32_e32 v47, v41, v39
	v_sub_f32_e32 v48, v40, v38
	v_sub_f32_e32 v50, v38, v44
	;; [unrolled: 1-line block ×3, first 2 shown]
	v_add_f32_e32 v38, v30, v31
	v_add_f32_e32 v44, v44, v46
	v_fmac_f32_e32 v107, v51, v6
	v_sub_f32_e32 v32, v55, v90
	v_sub_f32_e32 v49, v41, v39
	;; [unrolled: 1-line block ×4, first 2 shown]
	v_add_f32_e32 v39, v35, v34
	v_sub_f32_e32 v54, v30, v31
	v_sub_f32_e32 v30, v28, v30
	;; [unrolled: 1-line block ×3, first 2 shown]
	v_add_f32_e32 v45, v45, v47
	v_add_f32_e32 v28, v38, v28
	;; [unrolled: 1-line block ×3, first 2 shown]
	v_sub_f32_e32 v55, v35, v34
	v_sub_f32_e32 v35, v32, v35
	;; [unrolled: 1-line block ×3, first 2 shown]
	v_add_f32_e32 v32, v39, v32
	v_add_f32_e32 v39, v27, v45
	v_mul_f32_e32 v59, 0xbf08b237, v54
	v_mov_b32_e32 v54, v38
	v_mul_f32_e32 v26, 0x3f4a47b2, v50
	v_mul_f32_e32 v27, 0x3f4a47b2, v51
	;; [unrolled: 1-line block ×5, first 2 shown]
	v_fmac_f32_e32 v54, 0xbf955555, v44
	v_mov_b32_e32 v44, v39
	v_mul_f32_e32 v50, 0x3f5ff5aa, v31
	v_mul_f32_e32 v51, 0x3f5ff5aa, v34
	v_fmac_f32_e32 v44, 0xbf955555, v45
	v_fma_f32 v45, v48, s3, -v46
	v_fma_f32 v46, v49, s3, -v47
	;; [unrolled: 1-line block ×3, first 2 shown]
	v_fmac_f32_e32 v26, 0x3d64c772, v40
	v_fma_f32 v40, v49, s4, -v27
	v_fmac_f32_e32 v27, 0x3d64c772, v41
	v_fma_f32 v31, v31, s2, -v59
	v_fmac_f32_e32 v59, 0x3eae86e6, v30
	v_fma_f32 v34, v34, s2, -v58
	v_fmac_f32_e32 v58, 0x3eae86e6, v35
	v_fma_f32 v35, v35, s5, -v51
	v_add_f32_e32 v26, v26, v54
	v_add_f32_e32 v27, v27, v44
	;; [unrolled: 1-line block ×3, first 2 shown]
	v_fmac_f32_e32 v59, 0x3ee1c552, v28
	v_fmac_f32_e32 v58, 0x3ee1c552, v32
	;; [unrolled: 1-line block ×3, first 2 shown]
	v_fma_f32 v24, v24, v8, -v100
	v_fma_f32 v30, v30, s5, -v50
	v_add_f32_e32 v45, v45, v54
	v_add_f32_e32 v47, v47, v54
	;; [unrolled: 1-line block ×3, first 2 shown]
	v_fmac_f32_e32 v34, 0x3ee1c552, v32
	v_fmac_f32_e32 v35, 0x3ee1c552, v32
	v_add_f32_e32 v40, v58, v26
	v_sub_f32_e32 v41, v27, v59
	v_add_f32_e32 v51, v31, v46
	v_sub_f32_e32 v55, v46, v31
	v_sub_f32_e32 v58, v26, v58
	v_add_f32_e32 v59, v59, v27
	v_add_f32_e32 v26, v33, v37
	;; [unrolled: 1-line block ×5, first 2 shown]
	v_fmac_f32_e32 v30, 0x3ee1c552, v28
	v_add_f32_e32 v48, v35, v47
	v_sub_f32_e32 v50, v45, v34
	v_add_f32_e32 v54, v34, v45
	v_sub_f32_e32 v56, v47, v35
	v_sub_f32_e32 v28, v33, v37
	;; [unrolled: 1-line block ×3, first 2 shown]
	v_add_f32_e32 v34, v24, v25
	v_add_f32_e32 v35, v101, v103
	;; [unrolled: 1-line block ×4, first 2 shown]
	v_sub_f32_e32 v49, v44, v30
	v_add_f32_e32 v57, v30, v44
	v_sub_f32_e32 v30, v92, v107
	v_sub_f32_e32 v33, v94, v105
	v_sub_f32_e32 v24, v25, v24
	v_sub_f32_e32 v25, v103, v101
	v_sub_f32_e32 v44, v31, v26
	v_sub_f32_e32 v45, v32, v27
	v_sub_f32_e32 v26, v26, v34
	v_sub_f32_e32 v27, v27, v35
	v_sub_f32_e32 v31, v34, v31
	v_sub_f32_e32 v32, v35, v32
	v_add_f32_e32 v34, v34, v36
	v_add_f32_e32 v35, v35, v37
	;; [unrolled: 1-line block ×4, first 2 shown]
	v_sub_f32_e32 v62, v24, v29
	v_sub_f32_e32 v63, v25, v33
	;; [unrolled: 1-line block ×6, first 2 shown]
	v_add_f32_e32 v24, v42, v34
	v_add_f32_e32 v25, v43, v35
	;; [unrolled: 1-line block ×4, first 2 shown]
	v_mul_f32_e32 v30, 0x3f4a47b2, v26
	v_mul_f32_e32 v36, 0x3f4a47b2, v27
	;; [unrolled: 1-line block ×8, first 2 shown]
	v_mov_b32_e32 v62, v24
	v_mov_b32_e32 v63, v25
	v_fmac_f32_e32 v62, 0xbf955555, v34
	v_fmac_f32_e32 v63, 0xbf955555, v35
	v_fma_f32 v34, v44, s3, -v28
	v_fma_f32 v35, v45, s3, -v37
	;; [unrolled: 1-line block ×3, first 2 shown]
	v_fmac_f32_e32 v30, 0x3d64c772, v31
	v_fma_f32 v44, v45, s4, -v36
	v_fmac_f32_e32 v36, 0x3d64c772, v32
	v_fma_f32 v28, v29, s2, -v26
	;; [unrolled: 2-line block ×4, first 2 shown]
	v_fma_f32 v32, v88, s5, -v43
	v_mul_u32_u24_e32 v42, 0x4d, v60
	v_add_f32_e32 v30, v30, v62
	v_add_f32_e32 v33, v36, v63
	;; [unrolled: 1-line block ×6, first 2 shown]
	v_fmac_f32_e32 v26, 0x3ee1c552, v46
	v_fmac_f32_e32 v27, 0x3ee1c552, v47
	;; [unrolled: 1-line block ×6, first 2 shown]
	v_add_u32_sdwa v42, v42, v61 dst_sel:DWORD dst_unused:UNUSED_PAD src0_sel:DWORD src1_sel:BYTE_0
	v_add_f32_e32 v44, v29, v34
	v_sub_f32_e32 v45, v36, v28
	v_sub_f32_e32 v46, v35, v32
	v_add_f32_e32 v47, v31, v37
	v_sub_f32_e32 v87, v30, v27
	v_add_f32_e32 v88, v26, v33
	v_lshl_add_u32 v100, v42, 3, v97
	ds_write2_b64 v100, v[38:39], v[40:41] offset1:11
	ds_write2_b64 v100, v[48:49], v[50:51] offset0:22 offset1:33
	ds_write2_b64 v100, v[54:55], v[56:57] offset0:44 offset1:55
	ds_write_b64 v100, v[58:59] offset:528
	s_and_saveexec_b64 s[2:3], vcc
	s_cbranch_execz .LBB0_5
; %bb.4:
	v_sub_f32_e32 v38, v34, v29
	v_sub_f32_e32 v29, v37, v31
	;; [unrolled: 1-line block ×3, first 2 shown]
	v_mul_u32_u24_e32 v26, 0x4d, v98
	v_add_u32_sdwa v26, v26, v99 dst_sel:DWORD dst_unused:UNUSED_PAD src0_sel:DWORD src1_sel:BYTE_0
	v_add_f32_e32 v30, v27, v30
	v_lshl_add_u32 v26, v26, 3, v97
	v_add_f32_e32 v39, v28, v36
	v_add_f32_e32 v28, v32, v35
	ds_write2_b64 v26, v[24:25], v[30:31] offset1:11
	ds_write2_b64 v26, v[28:29], v[38:39] offset0:22 offset1:33
	ds_write2_b64 v26, v[44:45], v[46:47] offset0:44 offset1:55
	ds_write_b64 v26, v[87:88] offset:528
.LBB0_5:
	s_or_b64 exec, exec, s[2:3]
	v_mov_b32_e32 v25, s15
	s_movk_i32 s2, 0x50
	v_mov_b32_e32 v24, s14
	v_mad_u64_u32 v[48:49], s[2:3], v96, s2, v[24:25]
	s_waitcnt lgkmcnt(0)
	s_barrier
	global_load_dwordx4 v[36:39], v[48:49], off offset:528
	global_load_dwordx4 v[32:35], v[48:49], off offset:544
	;; [unrolled: 1-line block ×5, first 2 shown]
	ds_read2_b64 v[57:60], v95 offset1:77
	ds_read2_b64 v[89:92], v95 offset0:154 offset1:231
	ds_read_b64 v[49:50], v95 offset:6160
	v_add_u32_e32 v102, 0x800, v95
	v_add_u32_e32 v56, 0xc00, v95
	;; [unrolled: 1-line block ×3, first 2 shown]
	ds_read2_b64 v[103:106], v102 offset0:52 offset1:129
	ds_read2_b64 v[107:110], v56 offset0:78 offset1:155
	;; [unrolled: 1-line block ×3, first 2 shown]
	s_mov_b32 s2, 0x3f575c64
	s_mov_b32 s3, 0x3ed4b147
	;; [unrolled: 1-line block ×4, first 2 shown]
	v_mov_b32_e32 v48, s13
	s_movk_i32 s13, 0x1000
	v_addc_co_u32_e64 v48, s[0:1], 0, v48, s[0:1]
	s_movk_i32 s14, 0x1a78
	s_waitcnt vmcnt(4) lgkmcnt(5)
	v_mul_f32_e32 v51, v60, v37
	v_mul_f32_e32 v54, v59, v37
	s_waitcnt lgkmcnt(4)
	v_mul_f32_e32 v55, v90, v39
	v_mul_f32_e32 v61, v89, v39
	s_waitcnt vmcnt(3) lgkmcnt(2)
	v_mul_f32_e32 v93, v104, v35
	s_waitcnt vmcnt(0)
	v_mul_f32_e32 v126, v49, v43
	v_fma_f32 v51, v59, v36, -v51
	v_fmac_f32_e32 v54, v60, v36
	v_mul_f32_e32 v62, v92, v33
	v_mul_f32_e32 v63, v91, v33
	;; [unrolled: 1-line block ×3, first 2 shown]
	v_fma_f32 v55, v89, v38, -v55
	v_fmac_f32_e32 v61, v90, v38
	v_fma_f32 v60, v103, v34, -v93
	v_fmac_f32_e32 v126, v50, v42
	v_add_f32_e32 v50, v57, v51
	v_add_f32_e32 v93, v58, v54
	v_mul_f32_e32 v94, v103, v35
	v_fma_f32 v59, v91, v32, -v62
	v_fmac_f32_e32 v63, v92, v32
	v_add_f32_e32 v50, v50, v55
	v_add_f32_e32 v93, v93, v61
	v_mul_f32_e32 v115, v106, v29
	v_mul_f32_e32 v116, v105, v29
	v_fmac_f32_e32 v94, v104, v34
	v_add_f32_e32 v50, v50, v59
	v_add_f32_e32 v93, v93, v63
	s_waitcnt lgkmcnt(1)
	v_mul_f32_e32 v117, v108, v31
	v_mul_f32_e32 v118, v107, v31
	v_fma_f32 v62, v105, v28, -v115
	v_fmac_f32_e32 v116, v106, v28
	v_add_f32_e32 v50, v50, v60
	v_add_f32_e32 v93, v93, v94
	v_mul_f32_e32 v119, v110, v25
	v_mul_f32_e32 v120, v109, v25
	v_fma_f32 v89, v107, v30, -v117
	v_fmac_f32_e32 v118, v108, v30
	v_add_f32_e32 v50, v50, v62
	v_add_f32_e32 v93, v93, v116
	s_waitcnt lgkmcnt(0)
	v_mul_f32_e32 v121, v112, v27
	v_mul_f32_e32 v122, v111, v27
	v_fma_f32 v90, v109, v24, -v119
	v_fmac_f32_e32 v120, v110, v24
	v_add_f32_e32 v50, v50, v89
	v_add_f32_e32 v93, v93, v118
	v_mul_f32_e32 v123, v114, v41
	v_mul_f32_e32 v124, v113, v41
	v_fma_f32 v91, v111, v26, -v121
	v_fmac_f32_e32 v122, v112, v26
	v_fma_f32 v49, v49, v42, -v125
	v_add_f32_e32 v50, v50, v90
	v_add_f32_e32 v93, v93, v120
	v_fma_f32 v92, v113, v40, -v123
	v_fmac_f32_e32 v124, v114, v40
	v_add_f32_e32 v103, v51, v49
	v_add_f32_e32 v104, v54, v126
	v_sub_f32_e32 v51, v51, v49
	v_sub_f32_e32 v54, v54, v126
	v_add_f32_e32 v50, v50, v91
	v_add_f32_e32 v93, v93, v122
	v_mul_f32_e32 v105, 0xbf0a6770, v54
	v_mul_f32_e32 v106, 0xbf0a6770, v51
	v_add_f32_e32 v50, v50, v92
	v_add_f32_e32 v93, v93, v124
	v_mul_f32_e32 v110, 0xbf68dda4, v51
	v_mul_f32_e32 v114, 0xbf7d64f0, v51
	;; [unrolled: 1-line block ×4, first 2 shown]
	v_fma_f32 v107, v103, s2, -v105
	v_mov_b32_e32 v108, v106
	v_add_f32_e32 v49, v50, v49
	v_add_f32_e32 v50, v93, v126
	v_fmac_f32_e32 v105, 0x3f575c64, v103
	v_mov_b32_e32 v111, v110
	v_mov_b32_e32 v115, v114
	v_mov_b32_e32 v123, v121
	v_mov_b32_e32 v126, v51
	v_fmac_f32_e32 v108, 0x3f575c64, v104
	v_add_f32_e32 v93, v57, v105
	v_fma_f32 v105, v104, s2, -v106
	v_mul_f32_e32 v106, 0xbf68dda4, v54
	v_fmac_f32_e32 v111, 0x3ed4b147, v104
	v_fma_f32 v110, v104, s3, -v110
	v_mul_f32_e32 v112, 0xbf7d64f0, v54
	v_fmac_f32_e32 v115, 0xbe11bafb, v104
	v_fma_f32 v114, v104, s4, -v114
	v_mul_f32_e32 v117, 0xbf4178ce, v54
	v_fmac_f32_e32 v123, 0xbf27a4f4, v104
	v_fma_f32 v121, v104, s5, -v121
	v_mul_f32_e32 v54, 0xbe903f40, v54
	v_fmac_f32_e32 v126, 0xbf75a155, v104
	v_fma_f32 v51, v104, s12, -v51
	v_add_f32_e32 v108, v58, v108
	v_add_f32_e32 v105, v58, v105
	v_fma_f32 v109, v103, s3, -v106
	v_add_f32_e32 v111, v58, v111
	v_fmac_f32_e32 v106, 0x3ed4b147, v103
	v_add_f32_e32 v110, v58, v110
	v_fma_f32 v113, v103, s4, -v112
	v_add_f32_e32 v115, v58, v115
	v_fmac_f32_e32 v112, 0xbe11bafb, v103
	;; [unrolled: 4-line block ×4, first 2 shown]
	v_add_f32_e32 v51, v58, v51
	v_add_f32_e32 v58, v61, v124
	v_sub_f32_e32 v61, v61, v124
	v_add_f32_e32 v107, v57, v107
	v_add_f32_e32 v109, v57, v109
	;; [unrolled: 1-line block ×10, first 2 shown]
	v_sub_f32_e32 v55, v55, v92
	v_mul_f32_e32 v92, 0xbf68dda4, v61
	v_fma_f32 v103, v57, s3, -v92
	v_mul_f32_e32 v104, 0xbf68dda4, v55
	v_add_f32_e32 v103, v103, v107
	v_mov_b32_e32 v107, v104
	v_fmac_f32_e32 v92, 0x3ed4b147, v57
	v_fmac_f32_e32 v107, 0x3ed4b147, v58
	v_add_f32_e32 v92, v92, v93
	v_fma_f32 v93, v58, s3, -v104
	v_mul_f32_e32 v104, 0xbf4178ce, v61
	v_add_f32_e32 v107, v107, v108
	v_add_f32_e32 v93, v93, v105
	v_fma_f32 v105, v57, s5, -v104
	v_mul_f32_e32 v108, 0xbf4178ce, v55
	v_add_f32_e32 v105, v105, v109
	v_mov_b32_e32 v109, v108
	v_fmac_f32_e32 v104, 0xbf27a4f4, v57
	v_fmac_f32_e32 v109, 0xbf27a4f4, v58
	v_add_f32_e32 v104, v104, v106
	v_fma_f32 v106, v58, s5, -v108
	v_mul_f32_e32 v108, 0x3e903f40, v61
	v_add_f32_e32 v109, v109, v111
	v_add_f32_e32 v106, v106, v110
	v_fma_f32 v110, v57, s12, -v108
	v_mul_f32_e32 v111, 0x3e903f40, v55
	v_add_f32_e32 v110, v110, v113
	v_mov_b32_e32 v113, v111
	v_fmac_f32_e32 v108, 0xbf75a155, v57
	v_fmac_f32_e32 v113, 0xbf75a155, v58
	v_add_f32_e32 v108, v108, v112
	v_fma_f32 v111, v58, s12, -v111
	v_mul_f32_e32 v112, 0x3f7d64f0, v61
	v_add_f32_e32 v113, v113, v115
	v_add_f32_e32 v111, v111, v114
	v_fma_f32 v114, v57, s4, -v112
	v_mul_f32_e32 v115, 0x3f7d64f0, v55
	v_add_f32_e32 v114, v114, v119
	v_mov_b32_e32 v119, v115
	v_fma_f32 v115, v58, s4, -v115
	v_mul_f32_e32 v55, 0x3f0a6770, v55
	v_fmac_f32_e32 v112, 0xbe11bafb, v57
	v_add_f32_e32 v115, v115, v121
	v_mul_f32_e32 v61, 0x3f0a6770, v61
	v_mov_b32_e32 v121, v55
	v_fma_f32 v55, v58, s2, -v55
	v_fmac_f32_e32 v119, 0xbe11bafb, v58
	v_add_f32_e32 v112, v112, v117
	v_fma_f32 v117, v57, s2, -v61
	v_fmac_f32_e32 v121, 0x3f575c64, v58
	v_fmac_f32_e32 v61, 0x3f575c64, v57
	v_add_f32_e32 v51, v55, v51
	v_add_f32_e32 v55, v59, v91
	v_sub_f32_e32 v58, v59, v91
	v_sub_f32_e32 v59, v63, v122
	v_add_f32_e32 v54, v61, v54
	v_mul_f32_e32 v61, 0xbf7d64f0, v59
	v_add_f32_e32 v57, v63, v122
	v_fma_f32 v63, v55, s4, -v61
	v_mul_f32_e32 v91, 0xbf7d64f0, v58
	v_fmac_f32_e32 v61, 0xbe11bafb, v55
	v_add_f32_e32 v63, v63, v103
	v_mov_b32_e32 v103, v91
	v_add_f32_e32 v61, v61, v92
	v_fma_f32 v91, v57, s4, -v91
	v_mul_f32_e32 v92, 0x3e903f40, v59
	v_add_f32_e32 v91, v91, v93
	v_fma_f32 v93, v55, s12, -v92
	v_fmac_f32_e32 v103, 0xbe11bafb, v57
	v_add_f32_e32 v93, v93, v105
	v_mul_f32_e32 v105, 0x3e903f40, v58
	v_add_f32_e32 v103, v103, v107
	v_mov_b32_e32 v107, v105
	v_fmac_f32_e32 v92, 0xbf75a155, v55
	v_fmac_f32_e32 v107, 0xbf75a155, v57
	v_add_f32_e32 v92, v92, v104
	v_fma_f32 v104, v57, s12, -v105
	v_mul_f32_e32 v105, 0x3f68dda4, v59
	v_add_f32_e32 v107, v107, v109
	v_add_f32_e32 v104, v104, v106
	v_fma_f32 v106, v55, s3, -v105
	v_mul_f32_e32 v109, 0x3f68dda4, v58
	v_add_f32_e32 v106, v106, v110
	v_mov_b32_e32 v110, v109
	v_fmac_f32_e32 v105, 0x3ed4b147, v55
	v_fmac_f32_e32 v110, 0x3ed4b147, v57
	v_add_f32_e32 v105, v105, v108
	v_fma_f32 v108, v57, s3, -v109
	v_mul_f32_e32 v109, 0xbf0a6770, v59
	v_add_f32_e32 v110, v110, v113
	v_add_f32_e32 v108, v108, v111
	v_fma_f32 v111, v55, s2, -v109
	v_mul_f32_e32 v113, 0xbf0a6770, v58
	v_fmac_f32_e32 v109, 0x3f575c64, v55
	v_mul_f32_e32 v59, 0xbf4178ce, v59
	v_add_f32_e32 v111, v111, v114
	v_mov_b32_e32 v114, v113
	v_add_f32_e32 v109, v109, v112
	v_fma_f32 v112, v57, s2, -v113
	v_fma_f32 v113, v55, s5, -v59
	v_mul_f32_e32 v58, 0xbf4178ce, v58
	v_fmac_f32_e32 v59, 0xbf27a4f4, v55
	v_add_f32_e32 v54, v59, v54
	v_fma_f32 v55, v57, s5, -v58
	v_sub_f32_e32 v59, v94, v120
	v_add_f32_e32 v112, v112, v115
	v_mov_b32_e32 v115, v58
	v_add_f32_e32 v51, v55, v51
	v_add_f32_e32 v55, v60, v90
	v_sub_f32_e32 v58, v60, v90
	v_mul_f32_e32 v60, 0xbf4178ce, v59
	v_fma_f32 v90, v55, s5, -v60
	v_fmac_f32_e32 v114, 0x3f575c64, v57
	v_fmac_f32_e32 v115, 0xbf27a4f4, v57
	v_add_f32_e32 v57, v94, v120
	v_add_f32_e32 v63, v90, v63
	v_mul_f32_e32 v90, 0xbf4178ce, v58
	v_fmac_f32_e32 v60, 0xbf27a4f4, v55
	v_mov_b32_e32 v94, v90
	v_add_f32_e32 v60, v60, v61
	v_fma_f32 v61, v57, s5, -v90
	v_mul_f32_e32 v90, 0x3f7d64f0, v59
	v_add_f32_e32 v61, v61, v91
	v_fma_f32 v91, v55, s4, -v90
	v_fmac_f32_e32 v94, 0xbf27a4f4, v57
	v_add_f32_e32 v91, v91, v93
	v_mul_f32_e32 v93, 0x3f7d64f0, v58
	v_fmac_f32_e32 v90, 0xbe11bafb, v55
	v_add_f32_e32 v94, v94, v103
	v_mov_b32_e32 v103, v93
	v_add_f32_e32 v90, v90, v92
	v_fma_f32 v92, v57, s4, -v93
	v_mul_f32_e32 v93, 0xbf0a6770, v59
	v_add_f32_e32 v92, v92, v104
	v_fma_f32 v104, v55, s2, -v93
	v_fmac_f32_e32 v103, 0xbe11bafb, v57
	v_add_f32_e32 v104, v104, v106
	v_mul_f32_e32 v106, 0xbf0a6770, v58
	v_add_f32_e32 v103, v103, v107
	v_mov_b32_e32 v107, v106
	v_fmac_f32_e32 v93, 0x3f575c64, v55
	v_fmac_f32_e32 v107, 0x3f575c64, v57
	v_add_f32_e32 v93, v93, v105
	v_fma_f32 v105, v57, s2, -v106
	v_mul_f32_e32 v106, 0xbe903f40, v59
	v_add_f32_e32 v107, v107, v110
	v_add_f32_e32 v105, v105, v108
	v_fma_f32 v108, v55, s12, -v106
	v_mul_f32_e32 v110, 0xbe903f40, v58
	v_fmac_f32_e32 v106, 0xbf75a155, v55
	v_add_f32_e32 v106, v106, v109
	v_fma_f32 v109, v57, s12, -v110
	v_mul_f32_e32 v58, 0x3f68dda4, v58
	v_add_f32_e32 v121, v121, v126
	v_add_f32_e32 v109, v109, v112
	v_mov_b32_e32 v112, v58
	v_add_f32_e32 v119, v119, v123
	v_add_f32_e32 v117, v117, v125
	;; [unrolled: 1-line block ×4, first 2 shown]
	v_mov_b32_e32 v111, v110
	v_mul_f32_e32 v59, 0x3f68dda4, v59
	v_fmac_f32_e32 v112, 0x3ed4b147, v57
	v_add_f32_e32 v114, v114, v119
	v_add_f32_e32 v113, v113, v117
	v_fmac_f32_e32 v111, 0xbf75a155, v57
	v_fma_f32 v110, v55, s3, -v59
	v_add_f32_e32 v112, v112, v115
	v_fmac_f32_e32 v59, 0x3ed4b147, v55
	v_add_f32_e32 v115, v116, v118
	v_sub_f32_e32 v117, v62, v89
	v_sub_f32_e32 v116, v116, v118
	v_add_f32_e32 v111, v111, v114
	v_add_f32_e32 v110, v110, v113
	;; [unrolled: 1-line block ×3, first 2 shown]
	v_fma_f32 v54, v57, s3, -v58
	v_add_f32_e32 v114, v62, v89
	v_mul_f32_e32 v57, 0xbe903f40, v116
	v_mul_f32_e32 v58, 0xbe903f40, v117
	v_add_f32_e32 v51, v54, v51
	v_fma_f32 v54, v114, s12, -v57
	v_mov_b32_e32 v55, v58
	v_fmac_f32_e32 v57, 0xbf75a155, v114
	v_fma_f32 v58, v115, s12, -v58
	v_mul_f32_e32 v62, 0x3f0a6770, v117
	v_add_f32_e32 v54, v54, v63
	v_add_f32_e32 v57, v57, v60
	;; [unrolled: 1-line block ×3, first 2 shown]
	v_mul_f32_e32 v61, 0x3f0a6770, v116
	v_mov_b32_e32 v60, v62
	v_fma_f32 v62, v115, s2, -v62
	v_mul_f32_e32 v63, 0xbf4178ce, v116
	v_fma_f32 v59, v114, s2, -v61
	v_add_f32_e32 v62, v62, v92
	v_fma_f32 v89, v114, s5, -v63
	v_mul_f32_e32 v92, 0xbf4178ce, v117
	v_fmac_f32_e32 v63, 0xbf27a4f4, v114
	v_add_f32_e32 v59, v59, v91
	v_fmac_f32_e32 v61, 0x3f575c64, v114
	v_add_f32_e32 v91, v63, v93
	v_fma_f32 v63, v115, s5, -v92
	v_add_f32_e32 v61, v61, v90
	v_mov_b32_e32 v90, v92
	v_add_f32_e32 v92, v63, v105
	v_mul_f32_e32 v63, 0x3f68dda4, v116
	v_fmac_f32_e32 v60, 0x3f575c64, v115
	v_add_f32_e32 v89, v89, v104
	v_fma_f32 v93, v114, s3, -v63
	v_mul_f32_e32 v104, 0x3f68dda4, v117
	v_fmac_f32_e32 v63, 0x3ed4b147, v114
	v_fmac_f32_e32 v55, 0xbf75a155, v115
	v_add_f32_e32 v60, v60, v103
	v_add_f32_e32 v103, v63, v106
	v_fma_f32 v63, v115, s3, -v104
	v_add_f32_e32 v55, v55, v94
	v_add_f32_e32 v93, v93, v108
	v_mov_b32_e32 v94, v104
	v_add_f32_e32 v104, v63, v109
	v_mul_f32_e32 v63, 0xbf7d64f0, v116
	v_mul_f32_e32 v108, 0xbf7d64f0, v117
	v_fmac_f32_e32 v90, 0xbf27a4f4, v115
	v_fma_f32 v105, v114, s4, -v63
	v_mov_b32_e32 v106, v108
	v_fmac_f32_e32 v63, 0xbe11bafb, v114
	v_add_f32_e32 v90, v90, v107
	v_fmac_f32_e32 v94, 0x3ed4b147, v115
	v_fmac_f32_e32 v106, 0xbe11bafb, v115
	v_add_f32_e32 v107, v63, v113
	v_fma_f32 v63, v115, s4, -v108
	v_add_f32_e32 v94, v94, v111
	v_add_f32_e32 v105, v105, v110
	;; [unrolled: 1-line block ×4, first 2 shown]
	ds_write2_b64 v95, v[49:50], v[54:55] offset1:77
	ds_write2_b64 v95, v[59:60], v[89:90] offset0:154 offset1:231
	ds_write2_b64 v102, v[93:94], v[105:106] offset0:52 offset1:129
	;; [unrolled: 1-line block ×4, first 2 shown]
	ds_write_b64 v95, v[57:58] offset:6160
	v_add_co_u32_e64 v49, s[0:1], s13, v52
	v_addc_co_u32_e64 v50, s[0:1], 0, v48, s[0:1]
	s_waitcnt lgkmcnt(0)
	s_barrier
	global_load_dwordx2 v[54:55], v[49:50], off offset:2680
	v_add_co_u32_e64 v49, s[0:1], s14, v52
	v_addc_co_u32_e64 v50, s[0:1], 0, v48, s[0:1]
	global_load_dwordx2 v[61:62], v[49:50], off offset:616
	global_load_dwordx2 v[89:90], v[49:50], off offset:1232
	;; [unrolled: 1-line block ×5, first 2 shown]
	s_movk_i32 s0, 0x2000
	v_add_co_u32_e64 v57, s[0:1], s0, v52
	v_addc_co_u32_e64 v58, s[0:1], 0, v48, s[0:1]
	global_load_dwordx2 v[105:106], v[57:58], off offset:2896
	global_load_dwordx2 v[107:108], v[49:50], off offset:3696
	;; [unrolled: 1-line block ×3, first 2 shown]
	s_movk_i32 s0, 0x3000
	v_add_co_u32_e64 v49, s[0:1], s0, v52
	v_addc_co_u32_e64 v50, s[0:1], 0, v48, s[0:1]
	global_load_dwordx2 v[111:112], v[49:50], off offset:32
	global_load_dwordx2 v[113:114], v[49:50], off offset:648
	ds_read2_b64 v[48:51], v95 offset1:77
	ds_read2_b64 v[57:60], v95 offset0:154 offset1:231
	s_waitcnt vmcnt(10) lgkmcnt(1)
	v_mul_f32_e32 v52, v49, v55
	v_mul_f32_e32 v116, v48, v55
	v_fma_f32 v115, v48, v54, -v52
	v_fmac_f32_e32 v116, v49, v54
	s_waitcnt vmcnt(9)
	v_mul_f32_e32 v48, v51, v62
	v_mul_f32_e32 v49, v50, v62
	v_fma_f32 v48, v50, v61, -v48
	v_fmac_f32_e32 v49, v51, v61
	ds_write2_b64 v95, v[115:116], v[48:49] offset1:77
	s_waitcnt vmcnt(8) lgkmcnt(1)
	v_mul_f32_e32 v48, v58, v90
	v_fma_f32 v54, v57, v89, -v48
	v_mul_f32_e32 v55, v57, v90
	ds_read2_b64 v[48:51], v102 offset0:52 offset1:129
	v_fmac_f32_e32 v55, v58, v89
	s_waitcnt vmcnt(7)
	v_mul_f32_e32 v52, v60, v92
	v_mul_f32_e32 v58, v59, v92
	v_fma_f32 v57, v59, v91, -v52
	v_fmac_f32_e32 v58, v60, v91
	ds_write2_b64 v95, v[54:55], v[57:58] offset0:154 offset1:231
	ds_read2_b64 v[57:60], v56 offset0:78 offset1:155
	s_waitcnt vmcnt(6) lgkmcnt(2)
	v_mul_f32_e32 v52, v49, v94
	v_mul_f32_e32 v55, v48, v94
	v_fma_f32 v54, v48, v93, -v52
	v_fmac_f32_e32 v55, v49, v93
	s_waitcnt vmcnt(5)
	v_mul_f32_e32 v48, v51, v104
	v_mul_f32_e32 v49, v50, v104
	v_fma_f32 v48, v50, v103, -v48
	v_fmac_f32_e32 v49, v51, v103
	ds_write2_b64 v102, v[54:55], v[48:49] offset0:52 offset1:129
	s_waitcnt vmcnt(3) lgkmcnt(1)
	v_mul_f32_e32 v48, v58, v108
	v_fma_f32 v54, v57, v107, -v48
	ds_read2_b64 v[48:51], v101 offset0:104 offset1:181
	v_mul_f32_e32 v55, v57, v108
	v_fmac_f32_e32 v55, v58, v107
	v_mul_f32_e32 v52, v60, v106
	v_mul_f32_e32 v58, v59, v106
	v_fma_f32 v57, v59, v105, -v52
	v_fmac_f32_e32 v58, v60, v105
	ds_write2_b64 v56, v[54:55], v[57:58] offset0:78 offset1:155
	s_waitcnt vmcnt(2) lgkmcnt(1)
	v_mul_f32_e32 v52, v49, v110
	v_mul_f32_e32 v55, v48, v110
	v_fma_f32 v54, v48, v109, -v52
	v_fmac_f32_e32 v55, v49, v109
	ds_read_b64 v[48:49], v95 offset:6160
	s_waitcnt vmcnt(1)
	v_mul_f32_e32 v52, v51, v112
	v_mul_f32_e32 v58, v50, v112
	v_fma_f32 v57, v50, v111, -v52
	v_fmac_f32_e32 v58, v51, v111
	s_waitcnt vmcnt(0) lgkmcnt(0)
	v_mul_f32_e32 v50, v49, v114
	v_mul_f32_e32 v51, v48, v114
	v_fma_f32 v50, v48, v113, -v50
	v_fmac_f32_e32 v51, v49, v113
	ds_write2_b64 v101, v[54:55], v[57:58] offset0:104 offset1:181
	ds_write_b64 v95, v[50:51] offset:6160
	s_waitcnt lgkmcnt(0)
	s_barrier
	ds_read2_b64 v[48:51], v95 offset1:77
	ds_read2_b64 v[57:60], v95 offset0:154 offset1:231
	ds_read2_b64 v[89:92], v102 offset0:52 offset1:129
	;; [unrolled: 1-line block ×4, first 2 shown]
	ds_read_b64 v[54:55], v95 offset:6160
	s_waitcnt lgkmcnt(5)
	v_add_f32_e32 v52, v48, v50
	v_add_f32_e32 v61, v49, v51
	s_waitcnt lgkmcnt(4)
	v_add_f32_e32 v52, v52, v57
	v_add_f32_e32 v61, v61, v58
	v_add_f32_e32 v52, v52, v59
	v_add_f32_e32 v61, v61, v60
	s_waitcnt lgkmcnt(3)
	v_add_f32_e32 v52, v52, v89
	v_add_f32_e32 v61, v61, v90
	;; [unrolled: 5-line block ×4, first 2 shown]
	v_add_f32_e32 v52, v52, v109
	s_waitcnt lgkmcnt(0)
	v_add_f32_e32 v63, v55, v51
	v_sub_f32_e32 v51, v51, v55
	v_add_f32_e32 v62, v61, v110
	v_add_f32_e32 v61, v52, v54
	v_add_f32_e32 v52, v54, v50
	v_sub_f32_e32 v50, v50, v54
	v_mul_f32_e32 v54, 0xbf0a6770, v51
	v_mul_f32_e32 v93, 0x3f575c64, v63
	;; [unrolled: 1-line block ×10, first 2 shown]
	v_add_f32_e32 v62, v62, v55
	v_mov_b32_e32 v55, v54
	v_mov_b32_e32 v94, v93
	;; [unrolled: 1-line block ×10, first 2 shown]
	v_fmac_f32_e32 v55, 0x3f575c64, v52
	v_fmac_f32_e32 v94, 0x3f0a6770, v50
	v_fma_f32 v54, v52, s2, -v54
	v_fmac_f32_e32 v93, 0xbf0a6770, v50
	v_fmac_f32_e32 v112, 0x3ed4b147, v52
	v_fmac_f32_e32 v114, 0x3f68dda4, v50
	v_fma_f32 v111, v52, s3, -v111
	v_fmac_f32_e32 v113, 0xbf68dda4, v50
	;; [unrolled: 4-line block ×5, first 2 shown]
	v_add_f32_e32 v50, v109, v57
	v_sub_f32_e32 v52, v57, v109
	v_sub_f32_e32 v57, v58, v110
	v_add_f32_e32 v55, v48, v55
	v_add_f32_e32 v54, v48, v54
	;; [unrolled: 1-line block ×11, first 2 shown]
	v_mul_f32_e32 v58, 0xbf68dda4, v57
	v_add_f32_e32 v94, v49, v94
	v_add_f32_e32 v93, v49, v93
	;; [unrolled: 1-line block ×10, first 2 shown]
	v_mov_b32_e32 v63, v58
	v_fmac_f32_e32 v63, 0x3ed4b147, v50
	v_add_f32_e32 v55, v63, v55
	v_mul_f32_e32 v63, 0x3ed4b147, v51
	v_mov_b32_e32 v109, v63
	v_fma_f32 v58, v50, s3, -v58
	v_fmac_f32_e32 v63, 0xbf68dda4, v52
	v_add_f32_e32 v54, v58, v54
	v_add_f32_e32 v58, v63, v93
	v_mul_f32_e32 v63, 0xbf4178ce, v57
	v_fmac_f32_e32 v109, 0x3f68dda4, v52
	v_mov_b32_e32 v93, v63
	v_fma_f32 v63, v50, s5, -v63
	v_add_f32_e32 v94, v109, v94
	v_fmac_f32_e32 v93, 0xbf27a4f4, v50
	v_mul_f32_e32 v109, 0xbf27a4f4, v51
	v_add_f32_e32 v63, v63, v111
	v_mul_f32_e32 v111, 0x3e903f40, v57
	v_add_f32_e32 v93, v93, v112
	v_mov_b32_e32 v110, v109
	v_fmac_f32_e32 v109, 0xbf4178ce, v52
	v_mov_b32_e32 v112, v111
	v_fma_f32 v111, v50, s12, -v111
	v_fmac_f32_e32 v110, 0x3f4178ce, v52
	v_add_f32_e32 v109, v109, v113
	v_fmac_f32_e32 v112, 0xbf75a155, v50
	v_mul_f32_e32 v113, 0xbf75a155, v51
	v_add_f32_e32 v111, v111, v115
	v_mul_f32_e32 v115, 0x3f7d64f0, v57
	v_add_f32_e32 v110, v110, v114
	v_add_f32_e32 v112, v112, v116
	v_mov_b32_e32 v114, v113
	v_fmac_f32_e32 v113, 0x3e903f40, v52
	v_mov_b32_e32 v116, v115
	v_fma_f32 v115, v50, s4, -v115
	v_mul_f32_e32 v57, 0x3f0a6770, v57
	v_fmac_f32_e32 v114, 0xbe903f40, v52
	v_add_f32_e32 v113, v113, v117
	v_fmac_f32_e32 v116, 0xbe11bafb, v50
	v_mul_f32_e32 v117, 0xbe11bafb, v51
	v_add_f32_e32 v115, v115, v119
	v_mov_b32_e32 v119, v57
	v_mul_f32_e32 v51, 0x3f575c64, v51
	v_add_f32_e32 v114, v114, v118
	v_add_f32_e32 v116, v116, v120
	v_mov_b32_e32 v118, v117
	v_fmac_f32_e32 v119, 0x3f575c64, v50
	v_mov_b32_e32 v120, v51
	v_fma_f32 v50, v50, s2, -v57
	v_sub_f32_e32 v57, v60, v108
	v_fmac_f32_e32 v118, 0xbf7d64f0, v52
	v_fmac_f32_e32 v117, 0x3f7d64f0, v52
	;; [unrolled: 1-line block ×3, first 2 shown]
	v_add_f32_e32 v48, v50, v48
	v_fmac_f32_e32 v51, 0x3f0a6770, v52
	v_add_f32_e32 v50, v107, v59
	v_sub_f32_e32 v52, v59, v107
	v_mul_f32_e32 v59, 0xbf7d64f0, v57
	v_add_f32_e32 v49, v51, v49
	v_add_f32_e32 v51, v108, v60
	v_mov_b32_e32 v60, v59
	v_fmac_f32_e32 v60, 0xbe11bafb, v50
	v_add_f32_e32 v55, v60, v55
	v_mul_f32_e32 v60, 0xbe11bafb, v51
	v_fma_f32 v59, v50, s4, -v59
	v_mov_b32_e32 v107, v60
	v_add_f32_e32 v54, v59, v54
	v_fmac_f32_e32 v60, 0xbf7d64f0, v52
	v_mul_f32_e32 v59, 0x3e903f40, v57
	v_add_f32_e32 v58, v60, v58
	v_mov_b32_e32 v60, v59
	v_fmac_f32_e32 v60, 0xbf75a155, v50
	v_fmac_f32_e32 v107, 0x3f7d64f0, v52
	v_add_f32_e32 v60, v60, v93
	v_mul_f32_e32 v93, 0xbf75a155, v51
	v_add_f32_e32 v94, v107, v94
	v_mov_b32_e32 v107, v93
	v_fma_f32 v59, v50, s12, -v59
	v_fmac_f32_e32 v93, 0x3e903f40, v52
	v_add_f32_e32 v59, v59, v63
	v_add_f32_e32 v63, v93, v109
	v_mul_f32_e32 v93, 0x3f68dda4, v57
	v_mov_b32_e32 v108, v93
	v_fma_f32 v93, v50, s3, -v93
	v_fmac_f32_e32 v107, 0xbe903f40, v52
	v_fmac_f32_e32 v108, 0x3ed4b147, v50
	v_mul_f32_e32 v109, 0x3ed4b147, v51
	v_add_f32_e32 v93, v93, v111
	v_mul_f32_e32 v111, 0xbf0a6770, v57
	v_add_f32_e32 v107, v107, v110
	v_add_f32_e32 v108, v108, v112
	v_mov_b32_e32 v110, v109
	v_fmac_f32_e32 v109, 0x3f68dda4, v52
	v_mov_b32_e32 v112, v111
	v_fma_f32 v111, v50, s2, -v111
	v_mul_f32_e32 v57, 0xbf4178ce, v57
	v_fmac_f32_e32 v110, 0xbf68dda4, v52
	v_add_f32_e32 v109, v109, v113
	v_fmac_f32_e32 v112, 0x3f575c64, v50
	v_mul_f32_e32 v113, 0x3f575c64, v51
	v_add_f32_e32 v111, v111, v115
	v_mov_b32_e32 v115, v57
	v_mul_f32_e32 v51, 0xbf27a4f4, v51
	v_add_f32_e32 v110, v110, v114
	v_add_f32_e32 v112, v112, v116
	v_mov_b32_e32 v114, v113
	v_fmac_f32_e32 v115, 0xbf27a4f4, v50
	v_mov_b32_e32 v116, v51
	v_fma_f32 v50, v50, s5, -v57
	v_sub_f32_e32 v57, v90, v106
	v_fmac_f32_e32 v114, 0x3f0a6770, v52
	v_fmac_f32_e32 v113, 0xbf0a6770, v52
	;; [unrolled: 1-line block ×3, first 2 shown]
	v_add_f32_e32 v48, v50, v48
	v_fmac_f32_e32 v51, 0xbf4178ce, v52
	v_add_f32_e32 v50, v105, v89
	v_sub_f32_e32 v52, v89, v105
	v_mul_f32_e32 v89, 0xbf4178ce, v57
	v_add_f32_e32 v49, v51, v49
	v_add_f32_e32 v51, v106, v90
	v_mov_b32_e32 v90, v89
	v_fmac_f32_e32 v90, 0xbf27a4f4, v50
	v_add_f32_e32 v55, v90, v55
	v_mul_f32_e32 v90, 0xbf27a4f4, v51
	v_fma_f32 v89, v50, s5, -v89
	v_mov_b32_e32 v105, v90
	v_add_f32_e32 v89, v89, v54
	v_fmac_f32_e32 v90, 0xbf4178ce, v52
	v_mul_f32_e32 v54, 0x3f7d64f0, v57
	v_add_f32_e32 v58, v90, v58
	v_mov_b32_e32 v90, v54
	v_fmac_f32_e32 v90, 0xbe11bafb, v50
	v_fmac_f32_e32 v105, 0x3f4178ce, v52
	v_add_f32_e32 v60, v90, v60
	v_mul_f32_e32 v90, 0xbe11bafb, v51
	v_fma_f32 v54, v50, s4, -v54
	v_add_f32_e32 v94, v105, v94
	v_mov_b32_e32 v105, v90
	v_add_f32_e32 v59, v54, v59
	v_fmac_f32_e32 v90, 0x3f7d64f0, v52
	v_mul_f32_e32 v54, 0xbf0a6770, v57
	v_add_f32_e32 v63, v90, v63
	v_mov_b32_e32 v90, v54
	v_fma_f32 v54, v50, s2, -v54
	v_fmac_f32_e32 v90, 0x3f575c64, v50
	v_add_f32_e32 v93, v54, v93
	v_mul_f32_e32 v54, 0xbe903f40, v57
	v_fmac_f32_e32 v105, 0xbf7d64f0, v52
	v_add_f32_e32 v90, v90, v108
	v_mul_f32_e32 v106, 0x3f575c64, v51
	v_mov_b32_e32 v108, v54
	v_fma_f32 v54, v50, s12, -v54
	v_add_f32_e32 v105, v105, v107
	v_mov_b32_e32 v107, v106
	v_fmac_f32_e32 v106, 0xbf0a6770, v52
	v_add_f32_e32 v111, v54, v111
	v_mul_f32_e32 v54, 0x3f68dda4, v57
	v_add_f32_e32 v119, v119, v123
	v_fmac_f32_e32 v107, 0x3f0a6770, v52
	v_add_f32_e32 v106, v106, v109
	v_mul_f32_e32 v109, 0xbf75a155, v51
	v_mov_b32_e32 v57, v54
	v_add_f32_e32 v118, v118, v122
	v_add_f32_e32 v117, v117, v121
	;; [unrolled: 1-line block ×4, first 2 shown]
	v_fmac_f32_e32 v108, 0xbf75a155, v50
	v_mov_b32_e32 v110, v109
	v_fmac_f32_e32 v57, 0x3ed4b147, v50
	v_add_f32_e32 v114, v114, v118
	v_add_f32_e32 v113, v113, v117
	;; [unrolled: 1-line block ×3, first 2 shown]
	v_fmac_f32_e32 v110, 0x3e903f40, v52
	v_add_f32_e32 v112, v57, v115
	v_mul_f32_e32 v51, 0x3ed4b147, v51
	v_fma_f32 v50, v50, s3, -v54
	v_add_f32_e32 v115, v103, v91
	v_sub_f32_e32 v117, v91, v103
	v_sub_f32_e32 v103, v92, v104
	v_add_f32_e32 v120, v120, v124
	v_add_f32_e32 v110, v110, v114
	v_mov_b32_e32 v57, v51
	v_add_f32_e32 v114, v50, v48
	v_fmac_f32_e32 v51, 0x3f68dda4, v52
	v_mul_f32_e32 v48, 0xbe903f40, v103
	v_add_f32_e32 v116, v116, v120
	v_fmac_f32_e32 v109, 0xbe903f40, v52
	v_fmac_f32_e32 v57, 0xbf68dda4, v52
	v_add_f32_e32 v52, v51, v49
	v_mov_b32_e32 v49, v48
	v_add_f32_e32 v109, v109, v113
	v_add_f32_e32 v113, v57, v116
	;; [unrolled: 1-line block ×3, first 2 shown]
	v_fmac_f32_e32 v49, 0xbf75a155, v115
	v_add_f32_e32 v54, v49, v55
	v_mul_f32_e32 v49, 0xbf75a155, v116
	v_mov_b32_e32 v50, v49
	v_fmac_f32_e32 v50, 0x3e903f40, v117
	v_fma_f32 v48, v115, s12, -v48
	v_add_f32_e32 v55, v50, v94
	v_add_f32_e32 v50, v48, v89
	v_fmac_f32_e32 v49, 0xbe903f40, v117
	v_mul_f32_e32 v48, 0x3f0a6770, v103
	v_add_f32_e32 v51, v49, v58
	v_mov_b32_e32 v49, v48
	v_fmac_f32_e32 v49, 0x3f575c64, v115
	v_add_f32_e32 v57, v49, v60
	v_mul_f32_e32 v49, 0x3f575c64, v116
	v_mov_b32_e32 v58, v49
	v_fmac_f32_e32 v49, 0x3f0a6770, v117
	v_fma_f32 v48, v115, s2, -v48
	v_add_f32_e32 v49, v49, v63
	v_mul_f32_e32 v63, 0xbf4178ce, v103
	v_add_f32_e32 v48, v48, v59
	v_mov_b32_e32 v59, v63
	v_mul_f32_e32 v89, 0xbf27a4f4, v116
	v_fma_f32 v63, v115, s5, -v63
	v_mov_b32_e32 v60, v89
	v_add_f32_e32 v91, v63, v93
	v_fmac_f32_e32 v89, 0xbf4178ce, v117
	v_mul_f32_e32 v63, 0x3f68dda4, v103
	v_fmac_f32_e32 v59, 0xbf27a4f4, v115
	v_add_f32_e32 v92, v89, v106
	v_mov_b32_e32 v89, v63
	v_add_f32_e32 v59, v59, v90
	v_fmac_f32_e32 v89, 0x3ed4b147, v115
	v_mul_f32_e32 v90, 0x3ed4b147, v116
	v_add_f32_e32 v93, v89, v108
	v_mov_b32_e32 v89, v90
	v_fmac_f32_e32 v89, 0xbf68dda4, v117
	v_fma_f32 v63, v115, s3, -v63
	v_add_f32_e32 v94, v89, v110
	v_add_f32_e32 v89, v63, v111
	v_mul_f32_e32 v63, 0xbf7d64f0, v103
	v_mul_f32_e32 v106, 0xbe11bafb, v116
	v_mov_b32_e32 v103, v63
	v_mov_b32_e32 v104, v106
	v_fmac_f32_e32 v58, 0xbf0a6770, v117
	v_fmac_f32_e32 v60, 0x3f4178ce, v117
	;; [unrolled: 1-line block ×5, first 2 shown]
	v_fma_f32 v63, v115, s4, -v63
	v_fmac_f32_e32 v106, 0xbf7d64f0, v117
	v_add_f32_e32 v58, v58, v105
	v_add_f32_e32 v60, v60, v107
	;; [unrolled: 1-line block ×7, first 2 shown]
	s_barrier
	ds_write2_b64 v53, v[61:62], v[54:55] offset1:1
	ds_write2_b64 v53, v[57:58], v[59:60] offset0:2 offset1:3
	ds_write2_b64 v53, v[93:94], v[103:104] offset0:4 offset1:5
	;; [unrolled: 1-line block ×4, first 2 shown]
	ds_write_b64 v53, v[50:51] offset:80
	v_add_u32_e32 v57, 0x400, v95
	s_waitcnt lgkmcnt(0)
	s_barrier
	ds_read2_b64 v[52:55], v95 offset1:121
	ds_read2_b64 v[60:63], v57 offset0:114 offset1:235
	ds_read2_b64 v[56:59], v56 offset0:100 offset1:221
	ds_read_b64 v[93:94], v95 offset:5808
	s_and_saveexec_b64 s[0:1], vcc
	s_cbranch_execz .LBB0_7
; %bb.6:
	ds_read2_b64 v[48:51], v102 offset0:63 offset1:184
	ds_read2_b64 v[89:92], v95 offset0:77 offset1:198
	;; [unrolled: 1-line block ×3, first 2 shown]
	ds_read_b64 v[87:88], v95 offset:6424
.LBB0_7:
	s_or_b64 exec, exec, s[0:1]
	s_waitcnt lgkmcnt(3)
	v_mul_f32_e32 v101, v17, v55
	v_mul_f32_e32 v17, v17, v54
	v_fmac_f32_e32 v101, v16, v54
	v_fma_f32 v16, v16, v55, -v17
	s_waitcnt lgkmcnt(2)
	v_mul_f32_e32 v17, v19, v61
	v_mul_f32_e32 v19, v19, v60
	v_fmac_f32_e32 v17, v18, v60
	v_fma_f32 v18, v18, v61, -v19
	v_mul_f32_e32 v19, v13, v63
	v_mul_f32_e32 v13, v13, v62
	v_fmac_f32_e32 v19, v12, v62
	v_fma_f32 v12, v12, v63, -v13
	s_waitcnt lgkmcnt(1)
	v_mul_f32_e32 v13, v15, v57
	v_mul_f32_e32 v15, v15, v56
	v_fmac_f32_e32 v13, v14, v56
	v_fma_f32 v14, v14, v57, -v15
	;; [unrolled: 9-line block ×3, first 2 shown]
	v_add_f32_e32 v23, v101, v21
	v_add_f32_e32 v54, v16, v22
	v_sub_f32_e32 v16, v16, v22
	v_add_f32_e32 v22, v17, v15
	v_add_f32_e32 v55, v18, v20
	v_sub_f32_e32 v15, v17, v15
	v_sub_f32_e32 v17, v18, v20
	v_add_f32_e32 v18, v19, v13
	v_add_f32_e32 v20, v12, v14
	v_sub_f32_e32 v12, v14, v12
	v_add_f32_e32 v14, v22, v23
	v_sub_f32_e32 v13, v13, v19
	v_add_f32_e32 v19, v55, v54
	v_add_f32_e32 v14, v18, v14
	v_sub_f32_e32 v21, v101, v21
	v_sub_f32_e32 v56, v22, v23
	;; [unrolled: 1-line block ×4, first 2 shown]
	v_add_f32_e32 v59, v12, v17
	v_sub_f32_e32 v60, v13, v15
	v_sub_f32_e32 v61, v12, v17
	v_sub_f32_e32 v63, v16, v12
	v_add_f32_e32 v18, v20, v19
	v_add_f32_e32 v12, v52, v14
	v_sub_f32_e32 v57, v55, v54
	v_sub_f32_e32 v54, v54, v20
	;; [unrolled: 1-line block ×3, first 2 shown]
	v_add_f32_e32 v58, v13, v15
	v_sub_f32_e32 v62, v21, v13
	v_add_f32_e32 v13, v53, v18
	v_mul_f32_e32 v53, 0x3f08b237, v60
	v_mov_b32_e32 v60, v12
	v_sub_f32_e32 v15, v15, v21
	v_sub_f32_e32 v17, v17, v16
	v_add_f32_e32 v19, v58, v21
	v_mul_f32_e32 v20, 0x3f4a47b2, v23
	v_mul_f32_e32 v21, 0x3f4a47b2, v54
	;; [unrolled: 1-line block ×5, first 2 shown]
	s_mov_b32 s2, 0xbf5ff5aa
	v_fmac_f32_e32 v60, 0xbf955555, v14
	v_mov_b32_e32 v14, v13
	s_mov_b32 s3, 0x3f3bfb3b
	s_mov_b32 s4, 0xbf3bfb3b
	v_add_f32_e32 v16, v59, v16
	v_mul_f32_e32 v58, 0xbf5ff5aa, v15
	v_mul_f32_e32 v59, 0xbf5ff5aa, v17
	v_fmac_f32_e32 v14, 0xbf955555, v18
	v_fma_f32 v18, v56, s3, -v23
	v_fma_f32 v23, v57, s3, -v52
	;; [unrolled: 1-line block ×3, first 2 shown]
	v_fmac_f32_e32 v20, 0x3d64c772, v22
	v_fma_f32 v22, v57, s4, -v21
	v_fmac_f32_e32 v21, 0x3d64c772, v55
	v_fma_f32 v55, v15, s2, -v53
	;; [unrolled: 2-line block ×3, first 2 shown]
	v_fmac_f32_e32 v54, 0xbeae86e6, v63
	s_mov_b32 s5, 0x3eae86e6
	v_fma_f32 v57, v62, s5, -v58
	v_fma_f32 v58, v63, s5, -v59
	v_add_f32_e32 v59, v20, v60
	v_add_f32_e32 v61, v21, v14
	v_fmac_f32_e32 v53, 0xbee1c552, v19
	v_fmac_f32_e32 v54, 0xbee1c552, v16
	v_add_f32_e32 v20, v18, v60
	v_add_f32_e32 v21, v23, v14
	;; [unrolled: 1-line block ×4, first 2 shown]
	v_fmac_f32_e32 v55, 0xbee1c552, v19
	v_fmac_f32_e32 v56, 0xbee1c552, v16
	;; [unrolled: 1-line block ×4, first 2 shown]
	v_add_f32_e32 v14, v54, v59
	v_sub_f32_e32 v15, v61, v53
	v_add_f32_e32 v16, v58, v23
	v_sub_f32_e32 v17, v52, v57
	v_sub_f32_e32 v18, v20, v56
	v_add_f32_e32 v19, v55, v21
	v_add_f32_e32 v20, v56, v20
	v_sub_f32_e32 v21, v21, v55
	v_sub_f32_e32 v22, v23, v58
	v_add_f32_e32 v23, v57, v52
	v_sub_f32_e32 v52, v59, v54
	v_add_f32_e32 v53, v53, v61
	s_barrier
	ds_write2_b64 v100, v[12:13], v[14:15] offset1:11
	ds_write2_b64 v100, v[16:17], v[18:19] offset0:22 offset1:33
	ds_write2_b64 v100, v[20:21], v[22:23] offset0:44 offset1:55
	ds_write_b64 v100, v[52:53] offset:528
	s_and_saveexec_b64 s[0:1], vcc
	s_cbranch_execz .LBB0_9
; %bb.8:
	v_mul_f32_e32 v12, v1, v92
	v_mul_f32_e32 v13, v7, v88
	;; [unrolled: 1-line block ×4, first 2 shown]
	v_fmac_f32_e32 v12, v0, v91
	v_fmac_f32_e32 v13, v6, v87
	v_mul_f32_e32 v16, v9, v51
	v_fma_f32 v6, v6, v88, -v7
	v_fma_f32 v7, v0, v92, -v1
	v_mul_f32_e32 v0, v9, v50
	v_fmac_f32_e32 v16, v8, v50
	v_fma_f32 v8, v8, v51, -v0
	v_mul_f32_e32 v0, v11, v44
	v_fma_f32 v9, v10, v45, -v0
	v_add_f32_e32 v52, v6, v7
	v_add_f32_e32 v0, v8, v9
	v_mul_f32_e32 v15, v11, v45
	v_sub_f32_e32 v1, v52, v0
	v_fmac_f32_e32 v15, v10, v44
	v_mul_f32_e32 v20, v5, v47
	v_mul_f32_e32 v10, 0x3f4a47b2, v1
	;; [unrolled: 1-line block ×4, first 2 shown]
	v_fmac_f32_e32 v20, v4, v46
	v_fma_f32 v4, v4, v47, -v1
	v_mul_f32_e32 v1, v3, v48
	v_fmac_f32_e32 v19, v2, v48
	v_fma_f32 v2, v2, v49, -v1
	v_add_f32_e32 v5, v4, v2
	v_sub_f32_e32 v1, v0, v5
	v_mov_b32_e32 v3, v10
	v_mul_f32_e32 v11, 0x3d64c772, v1
	v_fmac_f32_e32 v3, 0x3d64c772, v1
	v_add_f32_e32 v1, v5, v52
	v_add_f32_e32 v0, v0, v1
	v_add_f32_e32 v1, v90, v0
	v_mov_b32_e32 v44, v1
	v_sub_f32_e32 v14, v12, v13
	v_fmac_f32_e32 v44, 0xbf955555, v0
	v_add_f32_e32 v12, v13, v12
	v_add_f32_e32 v0, v16, v15
	v_sub_f32_e32 v13, v12, v0
	v_sub_f32_e32 v17, v15, v16
	v_mul_f32_e32 v13, 0x3f4a47b2, v13
	v_add_f32_e32 v15, v20, v19
	v_sub_f32_e32 v21, v19, v20
	v_sub_f32_e32 v16, v0, v15
	v_mov_b32_e32 v20, v13
	v_mul_f32_e32 v19, 0x3d64c772, v16
	v_fmac_f32_e32 v20, 0x3d64c772, v16
	v_add_f32_e32 v16, v15, v12
	v_add_f32_e32 v16, v0, v16
	v_sub_f32_e32 v6, v7, v6
	v_sub_f32_e32 v7, v9, v8
	;; [unrolled: 1-line block ×4, first 2 shown]
	v_add_f32_e32 v0, v89, v16
	v_sub_f32_e32 v2, v7, v4
	v_sub_f32_e32 v18, v14, v17
	v_mul_f32_e32 v22, 0x3f08b237, v22
	v_add_f32_e32 v17, v17, v21
	v_mov_b32_e32 v46, v0
	v_sub_f32_e32 v8, v6, v7
	v_mul_f32_e32 v9, 0x3f08b237, v2
	v_add_f32_e32 v2, v7, v4
	v_sub_f32_e32 v7, v21, v14
	v_mov_b32_e32 v23, v22
	v_add_f32_e32 v17, v17, v14
	v_fmac_f32_e32 v46, 0xbf955555, v16
	v_add_f32_e32 v47, v2, v6
	v_mul_f32_e32 v14, 0xbf5ff5aa, v7
	v_sub_f32_e32 v6, v4, v6
	v_fmac_f32_e32 v23, 0xbeae86e6, v18
	v_add_f32_e32 v16, v20, v46
	v_mov_b32_e32 v20, v9
	v_fma_f32 v14, v18, s5, -v14
	v_sub_f32_e32 v18, v5, v52
	v_mul_f32_e32 v4, 0xbf5ff5aa, v6
	v_fmac_f32_e32 v20, 0xbeae86e6, v8
	v_fma_f32 v5, v18, s4, -v10
	v_sub_f32_e32 v12, v15, v12
	v_fma_f32 v15, v8, s5, -v4
	v_fma_f32 v8, v18, s3, -v11
	;; [unrolled: 1-line block ×3, first 2 shown]
	v_fmac_f32_e32 v14, 0xbee1c552, v17
	v_add_f32_e32 v10, v5, v44
	v_add_f32_e32 v8, v8, v44
	v_fmac_f32_e32 v11, 0xbee1c552, v17
	v_fmac_f32_e32 v23, 0xbee1c552, v17
	v_add_f32_e32 v5, v14, v10
	v_fma_f32 v13, v12, s4, -v13
	v_sub_f32_e32 v7, v8, v11
	v_fma_f32 v17, v6, s2, -v9
	v_fma_f32 v6, v12, s3, -v19
	v_add_f32_e32 v9, v11, v8
	v_sub_f32_e32 v11, v10, v14
	v_mul_u32_u24_e32 v14, 0x4d, v98
	v_add_f32_e32 v45, v3, v44
	v_fmac_f32_e32 v20, 0xbee1c552, v47
	v_add_f32_e32 v13, v13, v46
	v_fmac_f32_e32 v15, 0xbee1c552, v47
	v_fmac_f32_e32 v17, 0xbee1c552, v47
	v_add_f32_e32 v12, v6, v46
	v_add_u32_sdwa v14, v14, v99 dst_sel:DWORD dst_unused:UNUSED_PAD src0_sel:DWORD src1_sel:BYTE_0
	v_sub_f32_e32 v4, v13, v15
	v_add_f32_e32 v6, v17, v12
	v_sub_f32_e32 v8, v12, v17
	v_add_f32_e32 v10, v15, v13
	;; [unrolled: 2-line block ×3, first 2 shown]
	v_lshl_add_u32 v14, v14, 3, v97
	v_add_f32_e32 v3, v23, v45
	v_sub_f32_e32 v2, v16, v20
	ds_write2_b64 v14, v[0:1], v[12:13] offset1:11
	ds_write2_b64 v14, v[10:11], v[8:9] offset0:22 offset1:33
	ds_write2_b64 v14, v[6:7], v[4:5] offset0:44 offset1:55
	ds_write_b64 v14, v[2:3] offset:528
.LBB0_9:
	s_or_b64 exec, exec, s[0:1]
	s_waitcnt lgkmcnt(0)
	s_barrier
	ds_read2_b64 v[3:6], v95 offset1:77
	ds_read2_b64 v[7:10], v95 offset0:154 offset1:231
	v_add_u32_e32 v2, 0x800, v95
	ds_read2_b64 v[11:14], v2 offset0:52 offset1:129
	v_add_u32_e32 v1, 0xc00, v95
	s_waitcnt lgkmcnt(2)
	v_mul_f32_e32 v23, v37, v6
	ds_read2_b64 v[15:18], v1 offset0:78 offset1:155
	v_fmac_f32_e32 v23, v36, v5
	v_mul_f32_e32 v5, v37, v5
	v_fma_f32 v36, v36, v6, -v5
	s_waitcnt lgkmcnt(2)
	v_mul_f32_e32 v37, v39, v8
	v_mul_f32_e32 v5, v39, v7
	v_add_u32_e32 v0, 0x1000, v95
	v_fmac_f32_e32 v37, v38, v7
	v_fma_f32 v7, v38, v8, -v5
	v_mul_f32_e32 v8, v33, v10
	v_mul_f32_e32 v5, v33, v9
	ds_read2_b64 v[19:22], v0 offset0:104 offset1:181
	ds_read_b64 v[46:47], v95 offset:6160
	v_fmac_f32_e32 v8, v32, v9
	v_fma_f32 v9, v32, v10, -v5
	s_waitcnt lgkmcnt(3)
	v_mul_f32_e32 v10, v35, v12
	v_mul_f32_e32 v5, v35, v11
	v_fmac_f32_e32 v10, v34, v11
	v_fma_f32 v11, v34, v12, -v5
	v_mul_f32_e32 v12, v29, v14
	v_mul_f32_e32 v5, v29, v13
	v_fmac_f32_e32 v12, v28, v13
	v_fma_f32 v13, v28, v14, -v5
	s_waitcnt lgkmcnt(2)
	v_mul_f32_e32 v14, v31, v16
	v_mul_f32_e32 v5, v31, v15
	v_fmac_f32_e32 v14, v30, v15
	v_fma_f32 v15, v30, v16, -v5
	v_mul_f32_e32 v16, v25, v18
	v_mul_f32_e32 v5, v25, v17
	;; [unrolled: 9-line block ×3, first 2 shown]
	v_fmac_f32_e32 v20, v40, v21
	v_fma_f32 v21, v40, v22, -v5
	s_waitcnt lgkmcnt(0)
	v_mul_f32_e32 v5, v43, v46
	v_fma_f32 v24, v42, v47, -v5
	v_add_f32_e32 v5, v3, v23
	v_add_f32_e32 v6, v4, v36
	;; [unrolled: 1-line block ×13, first 2 shown]
	v_mul_f32_e32 v22, v43, v47
	v_add_f32_e32 v6, v6, v17
	v_add_f32_e32 v5, v5, v18
	v_fmac_f32_e32 v22, v42, v46
	v_add_f32_e32 v6, v6, v19
	v_add_f32_e32 v5, v5, v20
	;; [unrolled: 1-line block ×5, first 2 shown]
	v_sub_f32_e32 v22, v23, v22
	v_sub_f32_e32 v23, v36, v24
	v_mad_u64_u32 v[44:45], s[0:1], s10, v72, 0
	v_add_f32_e32 v6, v6, v24
	v_add_f32_e32 v26, v36, v24
	v_mul_f32_e32 v24, 0xbf0a6770, v23
	v_mul_f32_e32 v30, 0xbf68dda4, v23
	;; [unrolled: 1-line block ×5, first 2 shown]
	s_mov_b32 s2, 0x3f575c64
	s_mov_b32 s1, 0x3ed4b147
	;; [unrolled: 1-line block ×5, first 2 shown]
	v_mov_b32_e32 v43, v23
	v_fma_f32 v27, v25, s2, -v24
	v_fmac_f32_e32 v24, 0x3f575c64, v25
	v_mul_f32_e32 v28, 0x3f575c64, v26
	v_fma_f32 v31, v25, s1, -v30
	v_fmac_f32_e32 v30, 0x3ed4b147, v25
	v_mul_f32_e32 v32, 0x3ed4b147, v26
	;; [unrolled: 3-line block ×4, first 2 shown]
	v_fmac_f32_e32 v43, 0xbf75a155, v25
	v_mul_f32_e32 v26, 0xbf75a155, v26
	v_fma_f32 v23, v25, s4, -v23
	v_add_f32_e32 v24, v3, v24
	v_mov_b32_e32 v29, v28
	v_add_f32_e32 v27, v3, v27
	v_add_f32_e32 v30, v3, v30
	v_mov_b32_e32 v33, v32
	v_add_f32_e32 v31, v3, v31
	;; [unrolled: 3-line block ×5, first 2 shown]
	v_add_f32_e32 v23, v7, v21
	v_sub_f32_e32 v7, v7, v21
	v_fmac_f32_e32 v29, 0x3f0a6770, v22
	v_fmac_f32_e32 v28, 0xbf0a6770, v22
	;; [unrolled: 1-line block ×10, first 2 shown]
	v_add_f32_e32 v22, v37, v20
	v_mul_f32_e32 v21, 0xbf68dda4, v7
	v_fma_f32 v25, v22, s1, -v21
	v_fmac_f32_e32 v21, 0x3ed4b147, v22
	v_add_f32_e32 v21, v21, v24
	v_mul_f32_e32 v24, 0x3ed4b147, v23
	v_add_f32_e32 v29, v4, v29
	v_add_f32_e32 v28, v4, v28
	;; [unrolled: 1-line block ×10, first 2 shown]
	v_sub_f32_e32 v20, v37, v20
	v_mov_b32_e32 v26, v24
	v_fmac_f32_e32 v26, 0x3f68dda4, v20
	v_add_f32_e32 v25, v25, v27
	v_fmac_f32_e32 v24, 0xbf68dda4, v20
	v_mul_f32_e32 v27, 0xbf4178ce, v7
	v_add_f32_e32 v26, v26, v29
	v_add_f32_e32 v24, v24, v28
	v_fma_f32 v28, v22, s3, -v27
	v_fmac_f32_e32 v27, 0xbf27a4f4, v22
	v_mul_f32_e32 v29, 0xbf27a4f4, v23
	v_add_f32_e32 v27, v27, v30
	v_mov_b32_e32 v30, v29
	v_fmac_f32_e32 v30, 0x3f4178ce, v20
	v_add_f32_e32 v28, v28, v31
	v_fmac_f32_e32 v29, 0xbf4178ce, v20
	v_mul_f32_e32 v31, 0x3e903f40, v7
	v_add_f32_e32 v30, v30, v33
	v_add_f32_e32 v29, v29, v32
	v_fma_f32 v32, v22, s4, -v31
	v_fmac_f32_e32 v31, 0xbf75a155, v22
	v_mul_f32_e32 v33, 0xbf75a155, v23
	v_add_f32_e32 v31, v31, v34
	v_mov_b32_e32 v34, v33
	v_add_f32_e32 v32, v32, v35
	v_fmac_f32_e32 v33, 0x3e903f40, v20
	v_mul_f32_e32 v35, 0x3f7d64f0, v7
	v_fmac_f32_e32 v34, 0xbe903f40, v20
	v_add_f32_e32 v33, v33, v36
	v_fma_f32 v36, v22, s0, -v35
	v_mul_f32_e32 v37, 0xbe11bafb, v23
	v_mul_f32_e32 v23, 0x3f575c64, v23
	v_add_f32_e32 v34, v34, v38
	v_fmac_f32_e32 v35, 0xbe11bafb, v22
	v_mov_b32_e32 v38, v37
	v_add_f32_e32 v36, v36, v40
	v_mul_f32_e32 v7, 0x3f0a6770, v7
	v_mov_b32_e32 v40, v23
	v_add_f32_e32 v35, v35, v39
	v_fmac_f32_e32 v38, 0xbf7d64f0, v20
	v_fmac_f32_e32 v37, 0x3f7d64f0, v20
	v_mov_b32_e32 v39, v7
	v_fmac_f32_e32 v40, 0xbf0a6770, v20
	v_fma_f32 v7, v22, s2, -v7
	v_fmac_f32_e32 v23, 0x3f0a6770, v20
	v_add_f32_e32 v20, v9, v19
	v_sub_f32_e32 v9, v9, v19
	v_add_f32_e32 v3, v7, v3
	v_add_f32_e32 v7, v8, v18
	v_sub_f32_e32 v8, v8, v18
	v_mul_f32_e32 v18, 0xbf7d64f0, v9
	v_fma_f32 v19, v7, s0, -v18
	v_fmac_f32_e32 v18, 0xbe11bafb, v7
	v_add_f32_e32 v18, v18, v21
	v_mul_f32_e32 v21, 0xbe11bafb, v20
	v_fmac_f32_e32 v39, 0x3f575c64, v22
	v_add_f32_e32 v4, v23, v4
	v_mov_b32_e32 v22, v21
	v_fmac_f32_e32 v21, 0xbf7d64f0, v8
	v_mul_f32_e32 v23, 0x3e903f40, v9
	v_add_f32_e32 v21, v21, v24
	v_fma_f32 v24, v7, s4, -v23
	v_fmac_f32_e32 v23, 0xbf75a155, v7
	v_add_f32_e32 v23, v23, v27
	v_mul_f32_e32 v27, 0x3f68dda4, v9
	v_fmac_f32_e32 v22, 0x3f7d64f0, v8
	v_add_f32_e32 v19, v19, v25
	v_mul_f32_e32 v25, 0xbf75a155, v20
	v_add_f32_e32 v24, v24, v28
	v_fma_f32 v28, v7, s1, -v27
	v_fmac_f32_e32 v27, 0x3ed4b147, v7
	v_add_f32_e32 v22, v22, v26
	v_mov_b32_e32 v26, v25
	v_fmac_f32_e32 v25, 0x3e903f40, v8
	v_add_f32_e32 v27, v27, v31
	v_mul_f32_e32 v31, 0xbf0a6770, v9
	v_fmac_f32_e32 v26, 0xbe903f40, v8
	v_add_f32_e32 v25, v25, v29
	v_mul_f32_e32 v29, 0x3ed4b147, v20
	v_add_f32_e32 v28, v28, v32
	v_fma_f32 v32, v7, s2, -v31
	v_fmac_f32_e32 v31, 0x3f575c64, v7
	v_mul_f32_e32 v9, 0xbf4178ce, v9
	v_add_f32_e32 v26, v26, v30
	v_mov_b32_e32 v30, v29
	v_fmac_f32_e32 v29, 0x3f68dda4, v8
	v_add_f32_e32 v31, v31, v35
	v_mov_b32_e32 v35, v9
	v_fmac_f32_e32 v30, 0xbf68dda4, v8
	v_add_f32_e32 v29, v29, v33
	v_mul_f32_e32 v33, 0x3f575c64, v20
	v_fmac_f32_e32 v35, 0xbf27a4f4, v7
	v_mul_f32_e32 v20, 0xbf27a4f4, v20
	v_fma_f32 v7, v7, s3, -v9
	v_add_f32_e32 v30, v30, v34
	v_mov_b32_e32 v34, v33
	v_add_f32_e32 v32, v32, v36
	v_mov_b32_e32 v36, v20
	v_add_f32_e32 v3, v7, v3
	v_add_f32_e32 v7, v10, v16
	v_sub_f32_e32 v9, v10, v16
	v_sub_f32_e32 v10, v11, v17
	v_fmac_f32_e32 v34, 0x3f0a6770, v8
	v_fmac_f32_e32 v33, 0xbf0a6770, v8
	;; [unrolled: 1-line block ×4, first 2 shown]
	v_add_f32_e32 v8, v11, v17
	v_mul_f32_e32 v11, 0xbf4178ce, v10
	v_fma_f32 v16, v7, s3, -v11
	v_fmac_f32_e32 v11, 0xbf27a4f4, v7
	v_mul_f32_e32 v17, 0xbf27a4f4, v8
	v_add_f32_e32 v11, v11, v18
	v_mov_b32_e32 v18, v17
	v_add_f32_e32 v16, v16, v19
	v_fmac_f32_e32 v17, 0xbf4178ce, v9
	v_mul_f32_e32 v19, 0x3f7d64f0, v10
	v_add_f32_e32 v4, v20, v4
	v_fmac_f32_e32 v18, 0x3f4178ce, v9
	v_add_f32_e32 v17, v17, v21
	v_fma_f32 v20, v7, s0, -v19
	v_fmac_f32_e32 v19, 0xbe11bafb, v7
	v_mul_f32_e32 v21, 0xbe11bafb, v8
	v_add_f32_e32 v18, v18, v22
	v_add_f32_e32 v19, v19, v23
	v_mov_b32_e32 v22, v21
	v_fmac_f32_e32 v21, 0x3f7d64f0, v9
	v_mul_f32_e32 v23, 0xbf0a6770, v10
	v_fmac_f32_e32 v22, 0xbf7d64f0, v9
	v_add_f32_e32 v20, v20, v24
	v_add_f32_e32 v21, v21, v25
	v_fma_f32 v24, v7, s2, -v23
	v_fmac_f32_e32 v23, 0x3f575c64, v7
	v_mul_f32_e32 v25, 0x3f575c64, v8
	v_add_f32_e32 v22, v22, v26
	v_add_f32_e32 v23, v23, v27
	v_mov_b32_e32 v26, v25
	v_fmac_f32_e32 v25, 0xbf0a6770, v9
	v_mul_f32_e32 v27, 0xbe903f40, v10
	v_add_f32_e32 v24, v24, v28
	v_add_f32_e32 v25, v25, v29
	v_fma_f32 v28, v7, s4, -v27
	v_fmac_f32_e32 v27, 0xbf75a155, v7
	v_mul_f32_e32 v29, 0xbf75a155, v8
	v_mul_f32_e32 v10, 0x3f68dda4, v10
	;; [unrolled: 1-line block ×3, first 2 shown]
	v_add_f32_e32 v38, v38, v42
	v_add_f32_e32 v37, v37, v41
	;; [unrolled: 1-line block ×4, first 2 shown]
	v_fmac_f32_e32 v26, 0x3f0a6770, v9
	v_add_f32_e32 v27, v27, v31
	v_add_f32_e32 v28, v28, v32
	v_mov_b32_e32 v31, v10
	v_mov_b32_e32 v32, v8
	v_add_f32_e32 v34, v34, v38
	v_add_f32_e32 v33, v33, v37
	;; [unrolled: 1-line block ×5, first 2 shown]
	v_mov_b32_e32 v30, v29
	v_fmac_f32_e32 v29, 0xbe903f40, v9
	v_fmac_f32_e32 v31, 0x3ed4b147, v7
	;; [unrolled: 1-line block ×3, first 2 shown]
	v_fma_f32 v7, v7, s1, -v10
	v_sub_f32_e32 v38, v13, v15
	v_fmac_f32_e32 v30, 0x3e903f40, v9
	v_add_f32_e32 v29, v29, v33
	v_add_f32_e32 v31, v31, v35
	;; [unrolled: 1-line block ×4, first 2 shown]
	v_fmac_f32_e32 v8, 0x3f68dda4, v9
	v_add_f32_e32 v35, v12, v14
	v_add_f32_e32 v36, v13, v15
	v_mul_f32_e32 v3, 0xbe903f40, v38
	v_add_f32_e32 v30, v30, v34
	v_add_f32_e32 v34, v8, v4
	v_sub_f32_e32 v37, v12, v14
	v_fma_f32 v7, v35, s4, -v3
	v_fmac_f32_e32 v3, 0xbf75a155, v35
	v_mul_f32_e32 v8, 0xbf75a155, v36
	v_mul_f32_e32 v9, 0x3f0a6770, v38
	;; [unrolled: 1-line block ×4, first 2 shown]
	v_add_f32_e32 v3, v3, v11
	v_mov_b32_e32 v4, v8
	v_fma_f32 v11, v35, s2, -v9
	v_mov_b32_e32 v10, v12
	v_fma_f32 v15, v35, s3, -v13
	v_fmac_f32_e32 v13, 0xbf27a4f4, v35
	v_fmac_f32_e32 v4, 0x3e903f40, v37
	v_add_f32_e32 v7, v7, v16
	v_fmac_f32_e32 v8, 0xbe903f40, v37
	v_fmac_f32_e32 v10, 0xbf0a6770, v37
	v_add_f32_e32 v11, v11, v20
	v_fmac_f32_e32 v12, 0x3f0a6770, v37
	v_add_f32_e32 v13, v13, v23
	v_mul_f32_e32 v16, 0xbf27a4f4, v36
	v_add_f32_e32 v15, v15, v24
	v_mul_f32_e32 v20, 0x3ed4b147, v36
	v_mul_f32_e32 v23, 0xbf7d64f0, v38
	;; [unrolled: 1-line block ×3, first 2 shown]
	v_add_f32_e32 v4, v4, v18
	v_add_f32_e32 v8, v8, v17
	v_fmac_f32_e32 v9, 0x3f575c64, v35
	v_add_f32_e32 v10, v10, v22
	v_add_f32_e32 v12, v12, v21
	v_mov_b32_e32 v14, v16
	v_mul_f32_e32 v17, 0x3f68dda4, v38
	v_mov_b32_e32 v18, v20
	v_mov_b32_e32 v21, v23
	;; [unrolled: 1-line block ×3, first 2 shown]
	v_add_f32_e32 v9, v9, v19
	v_fmac_f32_e32 v14, 0x3f4178ce, v37
	v_fmac_f32_e32 v16, 0xbf4178ce, v37
	v_fma_f32 v19, v35, s1, -v17
	v_fmac_f32_e32 v17, 0x3ed4b147, v35
	v_fmac_f32_e32 v18, 0xbf68dda4, v37
	;; [unrolled: 1-line block ×5, first 2 shown]
	v_fma_f32 v23, v35, s0, -v23
	v_fmac_f32_e32 v24, 0xbf7d64f0, v37
	v_add_f32_e32 v14, v14, v26
	v_add_f32_e32 v16, v16, v25
	;; [unrolled: 1-line block ×10, first 2 shown]
	ds_write2_b64 v95, v[5:6], v[3:4] offset1:77
	ds_write2_b64 v95, v[9:10], v[13:14] offset0:154 offset1:231
	ds_write2_b64 v2, v[17:18], v[21:22] offset0:52 offset1:129
	;; [unrolled: 1-line block ×4, first 2 shown]
	ds_write_b64 v95, v[7:8] offset:6160
	s_waitcnt lgkmcnt(0)
	s_barrier
	ds_read2_b64 v[3:6], v95 offset1:77
	s_mov_b32 s0, 0xe9078e5b
	s_mov_b32 s1, 0x3f5357f3
	v_mad_u64_u32 v[10:11], s[2:3], s8, v96, 0
	s_waitcnt lgkmcnt(0)
	v_mul_f32_e32 v8, v86, v4
	v_fmac_f32_e32 v8, v85, v3
	v_cvt_f64_f32_e32 v[8:9], v8
	v_mul_f32_e32 v3, v86, v3
	v_fma_f32 v3, v85, v4, -v3
	v_cvt_f64_f32_e32 v[3:4], v3
	v_mul_f64 v[8:9], v[8:9], s[0:1]
	v_mov_b32_e32 v7, v45
	v_mul_f64 v[3:4], v[3:4], s[0:1]
	v_mad_u64_u32 v[12:13], s[2:3], s11, v72, v[7:8]
	v_mov_b32_e32 v7, v11
	v_mad_u64_u32 v[13:14], s[2:3], s9, v96, v[7:8]
	v_mov_b32_e32 v45, v12
	v_mul_f32_e32 v12, v84, v6
	v_fmac_f32_e32 v12, v83, v5
	v_mov_b32_e32 v11, v13
	v_cvt_f64_f32_e32 v[12:13], v12
	v_cvt_f32_f64_e32 v7, v[8:9]
	v_cvt_f32_f64_e32 v8, v[3:4]
	v_lshlrev_b64 v[3:4], 3, v[44:45]
	v_mul_f32_e32 v5, v84, v5
	v_fma_f32 v5, v83, v6, -v5
	v_mov_b32_e32 v9, s7
	v_cvt_f64_f32_e32 v[5:6], v5
	v_add_co_u32_e32 v14, vcc, s6, v3
	v_addc_co_u32_e32 v15, vcc, v9, v4, vcc
	v_lshlrev_b64 v[3:4], 3, v[10:11]
	v_mul_f64 v[9:10], v[12:13], s[0:1]
	v_add_co_u32_e32 v13, vcc, v14, v3
	v_mul_f64 v[11:12], v[5:6], s[0:1]
	v_addc_co_u32_e32 v14, vcc, v15, v4, vcc
	ds_read2_b64 v[3:6], v95 offset0:154 offset1:231
	global_store_dwordx2 v[13:14], v[7:8], off
	v_cvt_f32_f64_e32 v7, v[9:10]
	s_mul_i32 s2, s9, 0x268
	s_mul_hi_u32 s3, s8, 0x268
	s_waitcnt lgkmcnt(0)
	v_mul_f32_e32 v9, v80, v4
	v_fmac_f32_e32 v9, v79, v3
	v_mul_f32_e32 v3, v80, v3
	v_fma_f32 v3, v79, v4, -v3
	v_cvt_f64_f32_e32 v[3:4], v3
	v_cvt_f64_f32_e32 v[9:10], v9
	v_cvt_f32_f64_e32 v8, v[11:12]
	s_add_i32 s2, s3, s2
	v_mul_f64 v[3:4], v[3:4], s[0:1]
	v_mul_f64 v[9:10], v[9:10], s[0:1]
	s_mul_i32 s3, s8, 0x268
	v_mov_b32_e32 v12, s2
	v_add_co_u32_e32 v11, vcc, s3, v13
	v_addc_co_u32_e32 v12, vcc, v14, v12, vcc
	global_store_dwordx2 v[11:12], v[7:8], off
	v_cvt_f32_f64_e32 v8, v[3:4]
	v_mul_f32_e32 v3, v76, v6
	v_fmac_f32_e32 v3, v75, v5
	v_cvt_f32_f64_e32 v7, v[9:10]
	v_cvt_f64_f32_e32 v[9:10], v3
	v_mul_f32_e32 v3, v76, v5
	v_fma_f32 v3, v75, v6, -v3
	v_cvt_f64_f32_e32 v[13:14], v3
	ds_read2_b64 v[2:5], v2 offset0:52 offset1:129
	v_mov_b32_e32 v15, s2
	v_add_co_u32_e32 v11, vcc, s3, v11
	v_addc_co_u32_e32 v12, vcc, v12, v15, vcc
	global_store_dwordx2 v[11:12], v[7:8], off
	v_mul_f64 v[6:7], v[9:10], s[0:1]
	s_waitcnt lgkmcnt(0)
	v_mul_f32_e32 v10, v82, v3
	v_mul_f64 v[8:9], v[13:14], s[0:1]
	v_fmac_f32_e32 v10, v81, v2
	v_mul_f32_e32 v2, v82, v2
	v_fma_f32 v2, v81, v3, -v2
	v_cvt_f64_f32_e32 v[2:3], v2
	v_cvt_f64_f32_e32 v[13:14], v10
	v_cvt_f32_f64_e32 v6, v[6:7]
	v_add_co_u32_e32 v10, vcc, s3, v11
	v_mul_f64 v[2:3], v[2:3], s[0:1]
	v_cvt_f32_f64_e32 v7, v[8:9]
	v_mul_f64 v[8:9], v[13:14], s[0:1]
	v_mov_b32_e32 v13, s2
	v_addc_co_u32_e32 v11, vcc, v12, v13, vcc
	global_store_dwordx2 v[10:11], v[6:7], off
	v_mov_b32_e32 v14, s2
	v_cvt_f32_f64_e32 v7, v[2:3]
	v_mul_f32_e32 v2, v78, v5
	v_fmac_f32_e32 v2, v77, v4
	v_cvt_f32_f64_e32 v6, v[8:9]
	v_cvt_f64_f32_e32 v[8:9], v2
	v_mul_f32_e32 v2, v78, v4
	v_fma_f32 v2, v77, v5, -v2
	v_cvt_f64_f32_e32 v[12:13], v2
	ds_read2_b64 v[1:4], v1 offset0:78 offset1:155
	v_add_co_u32_e32 v10, vcc, s3, v10
	v_addc_co_u32_e32 v11, vcc, v11, v14, vcc
	global_store_dwordx2 v[10:11], v[6:7], off
	v_mul_f64 v[5:6], v[8:9], s[0:1]
	s_waitcnt lgkmcnt(0)
	v_mul_f32_e32 v9, v71, v2
	v_mul_f64 v[7:8], v[12:13], s[0:1]
	v_fmac_f32_e32 v9, v70, v1
	v_mul_f32_e32 v1, v71, v1
	v_fma_f32 v1, v70, v2, -v1
	v_cvt_f64_f32_e32 v[1:2], v1
	v_cvt_f64_f32_e32 v[12:13], v9
	v_cvt_f32_f64_e32 v5, v[5:6]
	v_add_co_u32_e32 v9, vcc, s3, v10
	v_mul_f64 v[1:2], v[1:2], s[0:1]
	v_cvt_f32_f64_e32 v6, v[7:8]
	v_mul_f64 v[7:8], v[12:13], s[0:1]
	v_mov_b32_e32 v12, s2
	v_addc_co_u32_e32 v10, vcc, v11, v12, vcc
	global_store_dwordx2 v[9:10], v[5:6], off
	v_mov_b32_e32 v13, s2
	v_cvt_f32_f64_e32 v6, v[1:2]
	v_mul_f32_e32 v1, v74, v4
	v_fmac_f32_e32 v1, v73, v3
	v_cvt_f32_f64_e32 v5, v[7:8]
	v_cvt_f64_f32_e32 v[7:8], v1
	v_mul_f32_e32 v1, v74, v3
	v_fma_f32 v1, v73, v4, -v1
	v_cvt_f64_f32_e32 v[11:12], v1
	ds_read2_b64 v[0:3], v0 offset0:104 offset1:181
	v_add_co_u32_e32 v9, vcc, s3, v9
	v_addc_co_u32_e32 v10, vcc, v10, v13, vcc
	global_store_dwordx2 v[9:10], v[5:6], off
	v_mul_f64 v[4:5], v[7:8], s[0:1]
	s_waitcnt lgkmcnt(0)
	v_mul_f32_e32 v8, v69, v1
	v_fmac_f32_e32 v8, v68, v0
	v_mul_f32_e32 v0, v69, v0
	v_mul_f64 v[6:7], v[11:12], s[0:1]
	v_fma_f32 v0, v68, v1, -v0
	v_cvt_f64_f32_e32 v[0:1], v0
	v_cvt_f64_f32_e32 v[11:12], v8
	v_cvt_f32_f64_e32 v4, v[4:5]
	v_add_co_u32_e32 v8, vcc, s3, v9
	v_mul_f64 v[0:1], v[0:1], s[0:1]
	v_cvt_f32_f64_e32 v5, v[6:7]
	v_mul_f64 v[6:7], v[11:12], s[0:1]
	v_mov_b32_e32 v11, s2
	v_addc_co_u32_e32 v9, vcc, v10, v11, vcc
	global_store_dwordx2 v[8:9], v[4:5], off
	v_mov_b32_e32 v10, s2
	v_cvt_f32_f64_e32 v5, v[0:1]
	v_mul_f32_e32 v0, v67, v3
	v_fmac_f32_e32 v0, v66, v2
	v_mul_f32_e32 v2, v67, v2
	v_fma_f32 v2, v66, v3, -v2
	v_cvt_f32_f64_e32 v4, v[6:7]
	v_cvt_f64_f32_e32 v[0:1], v0
	v_cvt_f64_f32_e32 v[2:3], v2
	ds_read_b64 v[6:7], v95 offset:6160
	v_add_co_u32_e32 v8, vcc, s3, v8
	v_addc_co_u32_e32 v9, vcc, v9, v10, vcc
	v_mul_f64 v[0:1], v[0:1], s[0:1]
	v_mul_f64 v[2:3], v[2:3], s[0:1]
	global_store_dwordx2 v[8:9], v[4:5], off
	s_waitcnt lgkmcnt(0)
	v_mul_f32_e32 v4, v65, v7
	v_fmac_f32_e32 v4, v64, v6
	v_mul_f32_e32 v6, v65, v6
	v_fma_f32 v6, v64, v7, -v6
	v_cvt_f64_f32_e32 v[4:5], v4
	v_cvt_f64_f32_e32 v[6:7], v6
	v_cvt_f32_f64_e32 v0, v[0:1]
	v_cvt_f32_f64_e32 v1, v[2:3]
	v_mul_f64 v[2:3], v[4:5], s[0:1]
	v_mul_f64 v[4:5], v[6:7], s[0:1]
	v_mov_b32_e32 v7, s2
	v_add_co_u32_e32 v6, vcc, s3, v8
	v_addc_co_u32_e32 v7, vcc, v9, v7, vcc
	global_store_dwordx2 v[6:7], v[0:1], off
	v_cvt_f32_f64_e32 v0, v[2:3]
	v_cvt_f32_f64_e32 v1, v[4:5]
	v_mov_b32_e32 v3, s2
	v_add_co_u32_e32 v2, vcc, s3, v6
	v_addc_co_u32_e32 v3, vcc, v7, v3, vcc
	global_store_dwordx2 v[2:3], v[0:1], off
.LBB0_10:
	s_endpgm
	.section	.rodata,"a",@progbits
	.p2align	6, 0x0
	.amdhsa_kernel bluestein_single_fwd_len847_dim1_sp_op_CI_CI
		.amdhsa_group_segment_fixed_size 20328
		.amdhsa_private_segment_fixed_size 0
		.amdhsa_kernarg_size 104
		.amdhsa_user_sgpr_count 6
		.amdhsa_user_sgpr_private_segment_buffer 1
		.amdhsa_user_sgpr_dispatch_ptr 0
		.amdhsa_user_sgpr_queue_ptr 0
		.amdhsa_user_sgpr_kernarg_segment_ptr 1
		.amdhsa_user_sgpr_dispatch_id 0
		.amdhsa_user_sgpr_flat_scratch_init 0
		.amdhsa_user_sgpr_private_segment_size 0
		.amdhsa_uses_dynamic_stack 0
		.amdhsa_system_sgpr_private_segment_wavefront_offset 0
		.amdhsa_system_sgpr_workgroup_id_x 1
		.amdhsa_system_sgpr_workgroup_id_y 0
		.amdhsa_system_sgpr_workgroup_id_z 0
		.amdhsa_system_sgpr_workgroup_info 0
		.amdhsa_system_vgpr_workitem_id 0
		.amdhsa_next_free_vgpr 127
		.amdhsa_next_free_sgpr 20
		.amdhsa_reserve_vcc 1
		.amdhsa_reserve_flat_scratch 0
		.amdhsa_float_round_mode_32 0
		.amdhsa_float_round_mode_16_64 0
		.amdhsa_float_denorm_mode_32 3
		.amdhsa_float_denorm_mode_16_64 3
		.amdhsa_dx10_clamp 1
		.amdhsa_ieee_mode 1
		.amdhsa_fp16_overflow 0
		.amdhsa_exception_fp_ieee_invalid_op 0
		.amdhsa_exception_fp_denorm_src 0
		.amdhsa_exception_fp_ieee_div_zero 0
		.amdhsa_exception_fp_ieee_overflow 0
		.amdhsa_exception_fp_ieee_underflow 0
		.amdhsa_exception_fp_ieee_inexact 0
		.amdhsa_exception_int_div_zero 0
	.end_amdhsa_kernel
	.text
.Lfunc_end0:
	.size	bluestein_single_fwd_len847_dim1_sp_op_CI_CI, .Lfunc_end0-bluestein_single_fwd_len847_dim1_sp_op_CI_CI
                                        ; -- End function
	.section	.AMDGPU.csdata,"",@progbits
; Kernel info:
; codeLenInByte = 14152
; NumSgprs: 24
; NumVgprs: 127
; ScratchSize: 0
; MemoryBound: 0
; FloatMode: 240
; IeeeMode: 1
; LDSByteSize: 20328 bytes/workgroup (compile time only)
; SGPRBlocks: 2
; VGPRBlocks: 31
; NumSGPRsForWavesPerEU: 24
; NumVGPRsForWavesPerEU: 127
; Occupancy: 2
; WaveLimiterHint : 1
; COMPUTE_PGM_RSRC2:SCRATCH_EN: 0
; COMPUTE_PGM_RSRC2:USER_SGPR: 6
; COMPUTE_PGM_RSRC2:TRAP_HANDLER: 0
; COMPUTE_PGM_RSRC2:TGID_X_EN: 1
; COMPUTE_PGM_RSRC2:TGID_Y_EN: 0
; COMPUTE_PGM_RSRC2:TGID_Z_EN: 0
; COMPUTE_PGM_RSRC2:TIDIG_COMP_CNT: 0
	.type	__hip_cuid_bd3197ac1caeedb0,@object ; @__hip_cuid_bd3197ac1caeedb0
	.section	.bss,"aw",@nobits
	.globl	__hip_cuid_bd3197ac1caeedb0
__hip_cuid_bd3197ac1caeedb0:
	.byte	0                               ; 0x0
	.size	__hip_cuid_bd3197ac1caeedb0, 1

	.ident	"AMD clang version 19.0.0git (https://github.com/RadeonOpenCompute/llvm-project roc-6.4.0 25133 c7fe45cf4b819c5991fe208aaa96edf142730f1d)"
	.section	".note.GNU-stack","",@progbits
	.addrsig
	.addrsig_sym __hip_cuid_bd3197ac1caeedb0
	.amdgpu_metadata
---
amdhsa.kernels:
  - .args:
      - .actual_access:  read_only
        .address_space:  global
        .offset:         0
        .size:           8
        .value_kind:     global_buffer
      - .actual_access:  read_only
        .address_space:  global
        .offset:         8
        .size:           8
        .value_kind:     global_buffer
      - .actual_access:  read_only
        .address_space:  global
        .offset:         16
        .size:           8
        .value_kind:     global_buffer
      - .actual_access:  read_only
        .address_space:  global
        .offset:         24
        .size:           8
        .value_kind:     global_buffer
      - .actual_access:  read_only
        .address_space:  global
        .offset:         32
        .size:           8
        .value_kind:     global_buffer
      - .offset:         40
        .size:           8
        .value_kind:     by_value
      - .address_space:  global
        .offset:         48
        .size:           8
        .value_kind:     global_buffer
      - .address_space:  global
        .offset:         56
        .size:           8
        .value_kind:     global_buffer
      - .address_space:  global
        .offset:         64
        .size:           8
        .value_kind:     global_buffer
      - .address_space:  global
        .offset:         72
        .size:           8
        .value_kind:     global_buffer
      - .offset:         80
        .size:           4
        .value_kind:     by_value
      - .address_space:  global
        .offset:         88
        .size:           8
        .value_kind:     global_buffer
      - .address_space:  global
        .offset:         96
        .size:           8
        .value_kind:     global_buffer
    .group_segment_fixed_size: 20328
    .kernarg_segment_align: 8
    .kernarg_segment_size: 104
    .language:       OpenCL C
    .language_version:
      - 2
      - 0
    .max_flat_workgroup_size: 231
    .name:           bluestein_single_fwd_len847_dim1_sp_op_CI_CI
    .private_segment_fixed_size: 0
    .sgpr_count:     24
    .sgpr_spill_count: 0
    .symbol:         bluestein_single_fwd_len847_dim1_sp_op_CI_CI.kd
    .uniform_work_group_size: 1
    .uses_dynamic_stack: false
    .vgpr_count:     127
    .vgpr_spill_count: 0
    .wavefront_size: 64
amdhsa.target:   amdgcn-amd-amdhsa--gfx906
amdhsa.version:
  - 1
  - 2
...

	.end_amdgpu_metadata
